;; amdgpu-corpus repo=ROCm/rocFFT kind=compiled arch=gfx1201 opt=O3
	.text
	.amdgcn_target "amdgcn-amd-amdhsa--gfx1201"
	.amdhsa_code_object_version 6
	.protected	fft_rtc_back_len1260_factors_2_2_3_3_5_7_wgs_63_tpt_63_halfLds_half_ip_CI_unitstride_sbrr_dirReg ; -- Begin function fft_rtc_back_len1260_factors_2_2_3_3_5_7_wgs_63_tpt_63_halfLds_half_ip_CI_unitstride_sbrr_dirReg
	.globl	fft_rtc_back_len1260_factors_2_2_3_3_5_7_wgs_63_tpt_63_halfLds_half_ip_CI_unitstride_sbrr_dirReg
	.p2align	8
	.type	fft_rtc_back_len1260_factors_2_2_3_3_5_7_wgs_63_tpt_63_halfLds_half_ip_CI_unitstride_sbrr_dirReg,@function
fft_rtc_back_len1260_factors_2_2_3_3_5_7_wgs_63_tpt_63_halfLds_half_ip_CI_unitstride_sbrr_dirReg: ; @fft_rtc_back_len1260_factors_2_2_3_3_5_7_wgs_63_tpt_63_halfLds_half_ip_CI_unitstride_sbrr_dirReg
; %bb.0:
	s_clause 0x2
	s_load_b128 s[4:7], s[0:1], 0x0
	s_load_b64 s[8:9], s[0:1], 0x50
	s_load_b64 s[10:11], s[0:1], 0x18
	v_mul_u32_u24_e32 v1, 0x411, v0
	v_mov_b32_e32 v3, 0
	s_delay_alu instid0(VALU_DEP_2) | instskip(NEXT) | instid1(VALU_DEP_1)
	v_lshrrev_b32_e32 v1, 16, v1
	v_add_nc_u32_e32 v5, ttmp9, v1
	v_mov_b32_e32 v1, 0
	v_mov_b32_e32 v2, 0
	;; [unrolled: 1-line block ×3, first 2 shown]
	s_wait_kmcnt 0x0
	v_cmp_lt_u64_e64 s2, s[6:7], 2
	s_delay_alu instid0(VALU_DEP_1)
	s_and_b32 vcc_lo, exec_lo, s2
	s_cbranch_vccnz .LBB0_8
; %bb.1:
	s_load_b64 s[2:3], s[0:1], 0x10
	v_mov_b32_e32 v1, 0
	v_mov_b32_e32 v2, 0
	s_add_nc_u64 s[12:13], s[10:11], 8
	s_mov_b64 s[14:15], 1
	s_wait_kmcnt 0x0
	s_add_nc_u64 s[16:17], s[2:3], 8
	s_mov_b32 s3, 0
.LBB0_2:                                ; =>This Inner Loop Header: Depth=1
	s_load_b64 s[18:19], s[16:17], 0x0
                                        ; implicit-def: $vgpr7_vgpr8
	s_mov_b32 s2, exec_lo
	s_wait_kmcnt 0x0
	v_or_b32_e32 v4, s19, v6
	s_delay_alu instid0(VALU_DEP_1)
	v_cmpx_ne_u64_e32 0, v[3:4]
	s_wait_alu 0xfffe
	s_xor_b32 s20, exec_lo, s2
	s_cbranch_execz .LBB0_4
; %bb.3:                                ;   in Loop: Header=BB0_2 Depth=1
	s_cvt_f32_u32 s2, s18
	s_cvt_f32_u32 s21, s19
	s_sub_nc_u64 s[24:25], 0, s[18:19]
	s_wait_alu 0xfffe
	s_delay_alu instid0(SALU_CYCLE_1) | instskip(SKIP_1) | instid1(SALU_CYCLE_2)
	s_fmamk_f32 s2, s21, 0x4f800000, s2
	s_wait_alu 0xfffe
	v_s_rcp_f32 s2, s2
	s_delay_alu instid0(TRANS32_DEP_1) | instskip(SKIP_1) | instid1(SALU_CYCLE_2)
	s_mul_f32 s2, s2, 0x5f7ffffc
	s_wait_alu 0xfffe
	s_mul_f32 s21, s2, 0x2f800000
	s_wait_alu 0xfffe
	s_delay_alu instid0(SALU_CYCLE_2) | instskip(SKIP_1) | instid1(SALU_CYCLE_2)
	s_trunc_f32 s21, s21
	s_wait_alu 0xfffe
	s_fmamk_f32 s2, s21, 0xcf800000, s2
	s_cvt_u32_f32 s23, s21
	s_wait_alu 0xfffe
	s_delay_alu instid0(SALU_CYCLE_1) | instskip(SKIP_1) | instid1(SALU_CYCLE_2)
	s_cvt_u32_f32 s22, s2
	s_wait_alu 0xfffe
	s_mul_u64 s[26:27], s[24:25], s[22:23]
	s_wait_alu 0xfffe
	s_mul_hi_u32 s29, s22, s27
	s_mul_i32 s28, s22, s27
	s_mul_hi_u32 s2, s22, s26
	s_mul_i32 s30, s23, s26
	s_wait_alu 0xfffe
	s_add_nc_u64 s[28:29], s[2:3], s[28:29]
	s_mul_hi_u32 s21, s23, s26
	s_mul_hi_u32 s31, s23, s27
	s_add_co_u32 s2, s28, s30
	s_wait_alu 0xfffe
	s_add_co_ci_u32 s2, s29, s21
	s_mul_i32 s26, s23, s27
	s_add_co_ci_u32 s27, s31, 0
	s_wait_alu 0xfffe
	s_add_nc_u64 s[26:27], s[2:3], s[26:27]
	s_wait_alu 0xfffe
	v_add_co_u32 v4, s2, s22, s26
	s_delay_alu instid0(VALU_DEP_1) | instskip(SKIP_1) | instid1(VALU_DEP_1)
	s_cmp_lg_u32 s2, 0
	s_add_co_ci_u32 s23, s23, s27
	v_readfirstlane_b32 s22, v4
	s_wait_alu 0xfffe
	s_delay_alu instid0(VALU_DEP_1)
	s_mul_u64 s[24:25], s[24:25], s[22:23]
	s_wait_alu 0xfffe
	s_mul_hi_u32 s27, s22, s25
	s_mul_i32 s26, s22, s25
	s_mul_hi_u32 s2, s22, s24
	s_mul_i32 s28, s23, s24
	s_wait_alu 0xfffe
	s_add_nc_u64 s[26:27], s[2:3], s[26:27]
	s_mul_hi_u32 s21, s23, s24
	s_mul_hi_u32 s22, s23, s25
	s_wait_alu 0xfffe
	s_add_co_u32 s2, s26, s28
	s_add_co_ci_u32 s2, s27, s21
	s_mul_i32 s24, s23, s25
	s_add_co_ci_u32 s25, s22, 0
	s_wait_alu 0xfffe
	s_add_nc_u64 s[24:25], s[2:3], s[24:25]
	s_wait_alu 0xfffe
	v_add_co_u32 v4, s2, v4, s24
	s_delay_alu instid0(VALU_DEP_1) | instskip(SKIP_1) | instid1(VALU_DEP_1)
	s_cmp_lg_u32 s2, 0
	s_add_co_ci_u32 s2, s23, s25
	v_mul_hi_u32 v13, v5, v4
	s_wait_alu 0xfffe
	v_mad_co_u64_u32 v[7:8], null, v5, s2, 0
	v_mad_co_u64_u32 v[9:10], null, v6, v4, 0
	;; [unrolled: 1-line block ×3, first 2 shown]
	s_delay_alu instid0(VALU_DEP_3) | instskip(SKIP_1) | instid1(VALU_DEP_4)
	v_add_co_u32 v4, vcc_lo, v13, v7
	s_wait_alu 0xfffd
	v_add_co_ci_u32_e32 v7, vcc_lo, 0, v8, vcc_lo
	s_delay_alu instid0(VALU_DEP_2) | instskip(SKIP_1) | instid1(VALU_DEP_2)
	v_add_co_u32 v4, vcc_lo, v4, v9
	s_wait_alu 0xfffd
	v_add_co_ci_u32_e32 v4, vcc_lo, v7, v10, vcc_lo
	s_wait_alu 0xfffd
	v_add_co_ci_u32_e32 v7, vcc_lo, 0, v12, vcc_lo
	s_delay_alu instid0(VALU_DEP_2) | instskip(SKIP_1) | instid1(VALU_DEP_2)
	v_add_co_u32 v4, vcc_lo, v4, v11
	s_wait_alu 0xfffd
	v_add_co_ci_u32_e32 v9, vcc_lo, 0, v7, vcc_lo
	s_delay_alu instid0(VALU_DEP_2) | instskip(SKIP_1) | instid1(VALU_DEP_3)
	v_mul_lo_u32 v10, s19, v4
	v_mad_co_u64_u32 v[7:8], null, s18, v4, 0
	v_mul_lo_u32 v11, s18, v9
	s_delay_alu instid0(VALU_DEP_2) | instskip(NEXT) | instid1(VALU_DEP_2)
	v_sub_co_u32 v7, vcc_lo, v5, v7
	v_add3_u32 v8, v8, v11, v10
	s_delay_alu instid0(VALU_DEP_1) | instskip(SKIP_1) | instid1(VALU_DEP_1)
	v_sub_nc_u32_e32 v10, v6, v8
	s_wait_alu 0xfffd
	v_subrev_co_ci_u32_e64 v10, s2, s19, v10, vcc_lo
	v_add_co_u32 v11, s2, v4, 2
	s_wait_alu 0xf1ff
	v_add_co_ci_u32_e64 v12, s2, 0, v9, s2
	v_sub_co_u32 v13, s2, v7, s18
	v_sub_co_ci_u32_e32 v8, vcc_lo, v6, v8, vcc_lo
	s_wait_alu 0xf1ff
	v_subrev_co_ci_u32_e64 v10, s2, 0, v10, s2
	s_delay_alu instid0(VALU_DEP_3) | instskip(NEXT) | instid1(VALU_DEP_3)
	v_cmp_le_u32_e32 vcc_lo, s18, v13
	v_cmp_eq_u32_e64 s2, s19, v8
	s_wait_alu 0xfffd
	v_cndmask_b32_e64 v13, 0, -1, vcc_lo
	v_cmp_le_u32_e32 vcc_lo, s19, v10
	s_wait_alu 0xfffd
	v_cndmask_b32_e64 v14, 0, -1, vcc_lo
	v_cmp_le_u32_e32 vcc_lo, s18, v7
	;; [unrolled: 3-line block ×3, first 2 shown]
	s_wait_alu 0xfffd
	v_cndmask_b32_e64 v15, 0, -1, vcc_lo
	v_cmp_eq_u32_e32 vcc_lo, s19, v10
	s_wait_alu 0xf1ff
	s_delay_alu instid0(VALU_DEP_2)
	v_cndmask_b32_e64 v7, v15, v7, s2
	s_wait_alu 0xfffd
	v_cndmask_b32_e32 v10, v14, v13, vcc_lo
	v_add_co_u32 v13, vcc_lo, v4, 1
	s_wait_alu 0xfffd
	v_add_co_ci_u32_e32 v14, vcc_lo, 0, v9, vcc_lo
	s_delay_alu instid0(VALU_DEP_3) | instskip(SKIP_2) | instid1(VALU_DEP_3)
	v_cmp_ne_u32_e32 vcc_lo, 0, v10
	s_wait_alu 0xfffd
	v_cndmask_b32_e32 v10, v13, v11, vcc_lo
	v_cndmask_b32_e32 v8, v14, v12, vcc_lo
	v_cmp_ne_u32_e32 vcc_lo, 0, v7
	s_wait_alu 0xfffd
	s_delay_alu instid0(VALU_DEP_2)
	v_dual_cndmask_b32 v7, v4, v10 :: v_dual_cndmask_b32 v8, v9, v8
.LBB0_4:                                ;   in Loop: Header=BB0_2 Depth=1
	s_wait_alu 0xfffe
	s_and_not1_saveexec_b32 s2, s20
	s_cbranch_execz .LBB0_6
; %bb.5:                                ;   in Loop: Header=BB0_2 Depth=1
	v_cvt_f32_u32_e32 v4, s18
	s_sub_co_i32 s20, 0, s18
	s_delay_alu instid0(VALU_DEP_1) | instskip(NEXT) | instid1(TRANS32_DEP_1)
	v_rcp_iflag_f32_e32 v4, v4
	v_mul_f32_e32 v4, 0x4f7ffffe, v4
	s_delay_alu instid0(VALU_DEP_1) | instskip(SKIP_1) | instid1(VALU_DEP_1)
	v_cvt_u32_f32_e32 v4, v4
	s_wait_alu 0xfffe
	v_mul_lo_u32 v7, s20, v4
	s_delay_alu instid0(VALU_DEP_1) | instskip(NEXT) | instid1(VALU_DEP_1)
	v_mul_hi_u32 v7, v4, v7
	v_add_nc_u32_e32 v4, v4, v7
	s_delay_alu instid0(VALU_DEP_1) | instskip(NEXT) | instid1(VALU_DEP_1)
	v_mul_hi_u32 v4, v5, v4
	v_mul_lo_u32 v7, v4, s18
	v_add_nc_u32_e32 v8, 1, v4
	s_delay_alu instid0(VALU_DEP_2) | instskip(NEXT) | instid1(VALU_DEP_1)
	v_sub_nc_u32_e32 v7, v5, v7
	v_subrev_nc_u32_e32 v9, s18, v7
	v_cmp_le_u32_e32 vcc_lo, s18, v7
	s_wait_alu 0xfffd
	s_delay_alu instid0(VALU_DEP_2) | instskip(NEXT) | instid1(VALU_DEP_1)
	v_dual_cndmask_b32 v7, v7, v9 :: v_dual_cndmask_b32 v4, v4, v8
	v_cmp_le_u32_e32 vcc_lo, s18, v7
	s_delay_alu instid0(VALU_DEP_2) | instskip(SKIP_1) | instid1(VALU_DEP_1)
	v_add_nc_u32_e32 v8, 1, v4
	s_wait_alu 0xfffd
	v_dual_cndmask_b32 v7, v4, v8 :: v_dual_mov_b32 v8, v3
.LBB0_6:                                ;   in Loop: Header=BB0_2 Depth=1
	s_wait_alu 0xfffe
	s_or_b32 exec_lo, exec_lo, s2
	s_load_b64 s[20:21], s[12:13], 0x0
	s_delay_alu instid0(VALU_DEP_1)
	v_mul_lo_u32 v4, v8, s18
	v_mul_lo_u32 v11, v7, s19
	v_mad_co_u64_u32 v[9:10], null, v7, s18, 0
	s_add_nc_u64 s[14:15], s[14:15], 1
	s_add_nc_u64 s[12:13], s[12:13], 8
	s_wait_alu 0xfffe
	v_cmp_ge_u64_e64 s2, s[14:15], s[6:7]
	s_add_nc_u64 s[16:17], s[16:17], 8
	s_delay_alu instid0(VALU_DEP_2) | instskip(NEXT) | instid1(VALU_DEP_3)
	v_add3_u32 v4, v10, v11, v4
	v_sub_co_u32 v5, vcc_lo, v5, v9
	s_wait_alu 0xfffd
	s_delay_alu instid0(VALU_DEP_2) | instskip(SKIP_3) | instid1(VALU_DEP_2)
	v_sub_co_ci_u32_e32 v4, vcc_lo, v6, v4, vcc_lo
	s_and_b32 vcc_lo, exec_lo, s2
	s_wait_kmcnt 0x0
	v_mul_lo_u32 v6, s21, v5
	v_mul_lo_u32 v4, s20, v4
	v_mad_co_u64_u32 v[1:2], null, s20, v5, v[1:2]
	s_delay_alu instid0(VALU_DEP_1)
	v_add3_u32 v2, v6, v2, v4
	s_wait_alu 0xfffe
	s_cbranch_vccnz .LBB0_9
; %bb.7:                                ;   in Loop: Header=BB0_2 Depth=1
	v_dual_mov_b32 v5, v7 :: v_dual_mov_b32 v6, v8
	s_branch .LBB0_2
.LBB0_8:
	v_dual_mov_b32 v8, v6 :: v_dual_mov_b32 v7, v5
.LBB0_9:
	s_lshl_b64 s[2:3], s[6:7], 3
	v_mul_hi_u32 v3, 0x4104105, v0
	s_wait_alu 0xfffe
	s_add_nc_u64 s[2:3], s[10:11], s[2:3]
	v_dual_mov_b32 v11, 0 :: v_dual_mov_b32 v22, 0
	s_load_b64 s[2:3], s[2:3], 0x0
	s_load_b64 s[0:1], s[0:1], 0x20
	v_dual_mov_b32 v25, 0 :: v_dual_mov_b32 v20, 0
	v_dual_mov_b32 v17, 0 :: v_dual_mov_b32 v10, 0
	v_mul_u32_u24_e32 v3, 63, v3
	v_mov_b32_e32 v9, 0
                                        ; implicit-def: $vgpr31
                                        ; implicit-def: $vgpr16
                                        ; implicit-def: $vgpr32
                                        ; implicit-def: $vgpr18
                                        ; implicit-def: $vgpr30
                                        ; implicit-def: $vgpr19
                                        ; implicit-def: $vgpr29
                                        ; implicit-def: $vgpr14
                                        ; implicit-def: $vgpr28
                                        ; implicit-def: $vgpr15
                                        ; implicit-def: $vgpr27
                                        ; implicit-def: $vgpr12
                                        ; implicit-def: $vgpr26
                                        ; implicit-def: $vgpr13
                                        ; implicit-def: $vgpr24
                                        ; implicit-def: $vgpr21
                                        ; implicit-def: $vgpr6
                                        ; implicit-def: $vgpr23
	s_delay_alu instid0(VALU_DEP_2)
	v_sub_nc_u32_e32 v0, v0, v3
	s_wait_kmcnt 0x0
	v_mul_lo_u32 v4, s2, v8
	v_mul_lo_u32 v5, s3, v7
	v_mad_co_u64_u32 v[1:2], null, s2, v7, v[1:2]
	v_cmp_gt_u64_e32 vcc_lo, s[0:1], v[7:8]
                                        ; implicit-def: $vgpr8
                                        ; implicit-def: $vgpr7
	s_delay_alu instid0(VALU_DEP_2) | instskip(SKIP_1) | instid1(VALU_DEP_2)
	v_add3_u32 v2, v5, v2, v4
	v_dual_mov_b32 v4, 0 :: v_dual_mov_b32 v5, 0
	v_lshlrev_b64_e32 v[2:3], 2, v[1:2]
	v_mov_b32_e32 v1, 0
	s_and_saveexec_b32 s1, vcc_lo
	s_cbranch_execz .LBB0_11
; %bb.10:
	v_mov_b32_e32 v1, 0
	s_delay_alu instid0(VALU_DEP_1) | instskip(SKIP_3) | instid1(VALU_DEP_2)
	v_lshlrev_b64_e32 v[4:5], 2, v[0:1]
	v_add_co_u32 v1, s0, s8, v2
	s_wait_alu 0xf1ff
	v_add_co_ci_u32_e64 v6, s0, s9, v3, s0
	v_add_co_u32 v23, s0, v1, v4
	s_wait_alu 0xf1ff
	s_delay_alu instid0(VALU_DEP_2)
	v_add_co_ci_u32_e64 v24, s0, v6, v5, s0
	s_clause 0x13
	global_load_b32 v16, v[23:24], off offset:2520
	global_load_b32 v18, v[23:24], off offset:2772
	;; [unrolled: 1-line block ×10, first 2 shown]
	global_load_b32 v11, v[23:24], off
	global_load_b32 v25, v[23:24], off offset:252
	global_load_b32 v22, v[23:24], off offset:504
	;; [unrolled: 1-line block ×9, first 2 shown]
	s_wait_loadcnt 0x13
	v_lshrrev_b32_e32 v31, 16, v16
	s_wait_loadcnt 0x12
	v_lshrrev_b32_e32 v32, 16, v18
	;; [unrolled: 2-line block ×10, first 2 shown]
.LBB0_11:
	s_wait_alu 0xfffe
	s_or_b32 exec_lo, exec_lo, s1
	s_wait_loadcnt 0x3
	v_lshrrev_b32_e32 v39, 16, v9
	v_lshrrev_b32_e32 v38, 16, v10
	v_sub_f16_e32 v13, v9, v13
	v_lshrrev_b32_e32 v33, 16, v11
	v_sub_f16_e32 v16, v11, v16
	v_sub_f16_e32 v42, v39, v26
	s_wait_loadcnt 0x2
	v_lshrrev_b32_e32 v26, 16, v5
	v_sub_f16_e32 v12, v10, v12
	v_sub_f16_e32 v41, v38, v27
	v_fma_f16 v27, v9, 2.0, -v13
	v_sub_f16_e32 v40, v5, v8
	s_wait_loadcnt 0x1
	v_lshrrev_b32_e32 v8, 16, v1
	s_wait_loadcnt 0x0
	v_lshrrev_b32_e32 v9, 16, v4
	v_lshrrev_b32_e32 v34, 16, v25
	v_sub_f16_e32 v18, v25, v18
	v_sub_f16_e32 v44, v26, v24
	;; [unrolled: 1-line block ×3, first 2 shown]
	v_lshrrev_b32_e32 v35, 16, v22
	v_sub_f16_e32 v19, v22, v19
	v_fma_f16 v43, v39, 2.0, -v42
	v_sub_f16_e32 v39, v4, v7
	v_lshrrev_b32_e32 v36, 16, v20
	v_sub_f16_e32 v14, v20, v14
	v_lshrrev_b32_e32 v37, 16, v17
	v_sub_f16_e32 v15, v17, v15
	v_sub_f16_e32 v31, v33, v31
	v_fma_f16 v11, v11, 2.0, -v16
	v_fma_f16 v10, v10, 2.0, -v12
	v_sub_f16_e32 v21, v8, v21
	v_sub_f16_e32 v23, v9, v23
	;; [unrolled: 1-line block ×3, first 2 shown]
	v_fma_f16 v25, v25, 2.0, -v18
	v_fma_f16 v45, v26, 2.0, -v44
	;; [unrolled: 1-line block ×3, first 2 shown]
	v_add_nc_u32_e32 v1, 63, v0
	v_sub_f16_e32 v30, v35, v30
	v_fma_f16 v22, v22, 2.0, -v19
	v_fma_f16 v47, v4, 2.0, -v39
	v_add_nc_u32_e32 v4, 0x7e, v0
	v_sub_f16_e32 v29, v36, v29
	v_fma_f16 v20, v20, 2.0, -v14
	v_add_nc_u32_e32 v6, 0xbd, v0
	v_sub_f16_e32 v28, v37, v28
	v_fma_f16 v17, v17, 2.0, -v15
	v_fma_f16 v5, v5, 2.0, -v40
	v_add_nc_u32_e32 v7, 0xfc, v0
	v_fma_f16 v33, v33, 2.0, -v31
	v_fma_f16 v46, v8, 2.0, -v21
	;; [unrolled: 1-line block ×3, first 2 shown]
	v_lshlrev_b32_e32 v49, 1, v0
	v_lshl_add_u32 v50, v0, 2, 0
	v_pack_b32_f16 v11, v11, v16
	v_add_nc_u32_e32 v8, 0x13b, v0
	v_add_nc_u32_e32 v9, 0x17a, v0
	v_pack_b32_f16 v10, v10, v12
	v_add_nc_u32_e32 v12, 0x1b9, v0
	v_add_nc_u32_e32 v53, 0x1f8, v0
	;; [unrolled: 1-line block ×3, first 2 shown]
	v_fma_f16 v34, v34, 2.0, -v32
	v_lshl_add_u32 v16, v1, 2, 0
	v_pack_b32_f16 v18, v25, v18
	v_fma_f16 v35, v35, 2.0, -v30
	v_lshl_add_u32 v51, v4, 2, 0
	v_pack_b32_f16 v19, v22, v19
	;; [unrolled: 3-line block ×4, first 2 shown]
	v_pack_b32_f16 v5, v5, v40
	v_fma_f16 v38, v38, 2.0, -v41
	v_lshl_add_u32 v17, v8, 2, 0
	v_lshl_add_u32 v52, v9, 2, 0
	v_pack_b32_f16 v13, v27, v13
	v_lshl_add_u32 v55, v12, 2, 0
	v_lshl_add_u32 v56, v53, 2, 0
	v_pack_b32_f16 v24, v26, v24
	v_lshl_add_u32 v57, v54, 2, 0
	v_pack_b32_f16 v25, v47, v39
	ds_store_b32 v50, v11
	ds_store_b32 v16, v18
	;; [unrolled: 1-line block ×10, first 2 shown]
	v_add_nc_u32_e32 v5, 0, v49
	v_pack_b32_f16 v31, v33, v31
	v_pack_b32_f16 v32, v34, v32
	;; [unrolled: 1-line block ×5, first 2 shown]
	global_wb scope:SCOPE_SE
	s_wait_dscnt 0x0
	s_barrier_signal -1
	s_barrier_wait -1
	global_inv scope:SCOPE_SE
	ds_load_u16 v14, v5 offset:1386
	ds_load_u16 v15, v5 offset:1512
	;; [unrolled: 1-line block ×5, first 2 shown]
	ds_load_u16 v10, v5
	ds_load_u16 v13, v5 offset:126
	ds_load_u16 v19, v5 offset:252
	;; [unrolled: 1-line block ×14, first 2 shown]
	global_wb scope:SCOPE_SE
	s_wait_dscnt 0x0
	s_barrier_signal -1
	s_barrier_wait -1
	global_inv scope:SCOPE_SE
	v_pack_b32_f16 v33, v38, v41
	v_pack_b32_f16 v34, v43, v42
	;; [unrolled: 1-line block ×5, first 2 shown]
	ds_store_b32 v50, v31
	ds_store_b32 v16, v32
	;; [unrolled: 1-line block ×10, first 2 shown]
	v_and_b32_e32 v16, 1, v0
	v_and_b32_e32 v20, 1, v1
	;; [unrolled: 1-line block ×5, first 2 shown]
	v_lshlrev_b32_e32 v17, 2, v16
	v_and_b32_e32 v28, 1, v54
	v_lshlrev_b32_e32 v29, 2, v20
	v_lshlrev_b32_e32 v30, 2, v21
	;; [unrolled: 1-line block ×4, first 2 shown]
	global_wb scope:SCOPE_SE
	s_wait_dscnt 0x0
	s_barrier_signal -1
	s_barrier_wait -1
	global_inv scope:SCOPE_SE
	v_lshlrev_b32_e32 v33, 2, v28
	s_clause 0x5
	global_load_b32 v41, v17, s[4:5]
	global_load_b32 v47, v29, s[4:5]
	;; [unrolled: 1-line block ×6, first 2 shown]
	ds_load_u16 v68, v5 offset:1260
	ds_load_u16 v69, v5 offset:1386
	;; [unrolled: 1-line block ×6, first 2 shown]
	ds_load_u16 v62, v5
	ds_load_u16 v63, v5 offset:126
	ds_load_u16 v64, v5 offset:252
	;; [unrolled: 1-line block ×13, first 2 shown]
	v_lshlrev_b32_e32 v12, 1, v12
	v_lshlrev_b32_e32 v17, 1, v1
	;; [unrolled: 1-line block ×9, first 2 shown]
	v_and_or_b32 v12, 0x3fc, v12, v23
	v_and_or_b32 v33, 0x7c, v49, v16
	;; [unrolled: 1-line block ×10, first 2 shown]
	v_lshl_add_u32 v50, v12, 1, 0
	v_lshl_add_u32 v56, v17, 1, 0
	v_lshl_add_u32 v49, v16, 1, 0
	v_lshl_add_u32 v55, v20, 1, 0
	v_lshl_add_u32 v54, v21, 1, 0
	v_lshl_add_u32 v53, v29, 1, 0
	v_lshl_add_u32 v52, v22, 1, 0
	v_lshl_add_u32 v51, v30, 1, 0
	v_lshl_add_u32 v48, v23, 1, 0
	v_lshl_add_u32 v45, v33, 1, 0
	global_wb scope:SCOPE_SE
	s_wait_loadcnt_dscnt 0x0
	s_barrier_signal -1
	s_barrier_wait -1
	global_inv scope:SCOPE_SE
	v_cmp_gt_u32_e64 s0, 42, v0
	v_lshrrev_b32_e32 v77, 16, v41
	v_lshrrev_b32_e32 v82, 16, v47
	;; [unrolled: 1-line block ×6, first 2 shown]
	v_mul_f16_e32 v12, v68, v77
	v_mul_f16_e32 v16, v69, v82
	;; [unrolled: 1-line block ×10, first 2 shown]
	v_fmac_f16_e32 v12, v40, v41
	v_fmac_f16_e32 v16, v14, v47
	;; [unrolled: 1-line block ×10, first 2 shown]
	v_sub_f16_e32 v31, v10, v12
	v_sub_f16_e32 v16, v13, v16
	;; [unrolled: 1-line block ×10, first 2 shown]
	v_fma_f16 v30, v10, 2.0, -v31
	v_fma_f16 v13, v13, 2.0, -v16
	;; [unrolled: 1-line block ×10, first 2 shown]
	ds_store_b16 v45, v30
	ds_store_b16 v45, v31 offset:4
	ds_store_b16 v56, v13
	ds_store_b16 v56, v16 offset:4
	;; [unrolled: 2-line block ×10, first 2 shown]
	global_wb scope:SCOPE_SE
	s_wait_dscnt 0x0
	s_barrier_signal -1
	s_barrier_wait -1
	global_inv scope:SCOPE_SE
	ds_load_u16 v29, v5 offset:966
	ds_load_u16 v28, v5 offset:1806
	;; [unrolled: 1-line block ×4, first 2 shown]
	ds_load_u16 v21, v5
	ds_load_u16 v20, v5 offset:126
	ds_load_u16 v19, v5 offset:252
	;; [unrolled: 1-line block ×13, first 2 shown]
                                        ; implicit-def: $vgpr35
	s_and_saveexec_b32 s1, s0
	s_cbranch_execz .LBB0_13
; %bb.12:
	ds_load_u16 v10, v5 offset:756
	ds_load_u16 v12, v5 offset:1596
	;; [unrolled: 1-line block ×3, first 2 shown]
.LBB0_13:
	s_wait_alu 0xfffe
	s_or_b32 exec_lo, exec_lo, s1
	v_mul_f16_e32 v40, v40, v77
	v_mul_f16_e32 v14, v14, v82
	;; [unrolled: 1-line block ×5, first 2 shown]
	v_fma_f16 v40, v68, v41, -v40
	v_mul_f16_e32 v11, v11, v80
	v_mul_f16_e32 v39, v39, v77
	;; [unrolled: 1-line block ×5, first 2 shown]
	v_fma_f16 v14, v69, v47, -v14
	v_fma_f16 v15, v70, v41, -v15
	;; [unrolled: 1-line block ×7, first 2 shown]
	v_sub_f16_e32 v40, v62, v40
	v_fma_f16 v26, v75, v41, -v26
	v_fma_f16 v25, v76, v42, -v25
	v_sub_f16_e32 v14, v63, v14
	v_sub_f16_e32 v15, v64, v15
	;; [unrolled: 1-line block ×4, first 2 shown]
	v_fma_f16 v41, v62, 2.0, -v40
	v_sub_f16_e32 v47, v57, v11
	v_sub_f16_e32 v62, v58, v39
	;; [unrolled: 1-line block ×5, first 2 shown]
	v_fma_f16 v42, v63, 2.0, -v14
	v_fma_f16 v43, v64, 2.0, -v15
	;; [unrolled: 1-line block ×9, first 2 shown]
	global_wb scope:SCOPE_SE
	s_wait_dscnt 0x0
	s_barrier_signal -1
	s_barrier_wait -1
	global_inv scope:SCOPE_SE
	ds_store_b16 v45, v41
	ds_store_b16 v45, v40 offset:4
	ds_store_b16 v56, v42
	ds_store_b16 v56, v14 offset:4
	ds_store_b16 v55, v43
	ds_store_b16 v55, v15 offset:4
	ds_store_b16 v54, v44
	ds_store_b16 v54, v18 offset:4
	ds_store_b16 v53, v46
	ds_store_b16 v53, v24 offset:4
	ds_store_b16 v52, v25
	ds_store_b16 v52, v47 offset:4
	ds_store_b16 v51, v57
	ds_store_b16 v51, v62 offset:4
	ds_store_b16 v50, v58
	ds_store_b16 v50, v27 offset:4
	ds_store_b16 v49, v59
	ds_store_b16 v49, v26 offset:4
	ds_store_b16 v48, v11
	ds_store_b16 v48, v39 offset:4
	global_wb scope:SCOPE_SE
	s_wait_dscnt 0x0
	s_barrier_signal -1
	s_barrier_wait -1
	global_inv scope:SCOPE_SE
	ds_load_u16 v44, v5 offset:966
	ds_load_u16 v42, v5 offset:1806
	;; [unrolled: 1-line block ×4, first 2 shown]
	ds_load_u16 v26, v5
	ds_load_u16 v25, v5 offset:126
	ds_load_u16 v24, v5 offset:252
	;; [unrolled: 1-line block ×13, first 2 shown]
                                        ; implicit-def: $vgpr49
	s_and_saveexec_b32 s1, s0
	s_cbranch_execz .LBB0_15
; %bb.14:
	ds_load_u16 v11, v5 offset:756
	ds_load_u16 v39, v5 offset:1596
	;; [unrolled: 1-line block ×3, first 2 shown]
.LBB0_15:
	s_wait_alu 0xfffe
	s_or_b32 exec_lo, exec_lo, s1
	v_and_b32_e32 v52, 3, v0
	v_and_b32_e32 v53, 3, v1
	;; [unrolled: 1-line block ×5, first 2 shown]
	v_lshlrev_b32_e32 v43, 3, v52
	v_lshlrev_b32_e32 v59, 3, v53
	;; [unrolled: 1-line block ×3, first 2 shown]
	v_and_b32_e32 v27, 3, v9
	v_lshrrev_b32_e32 v61, 2, v4
	s_clause 0x2
	global_load_b64 v[79:80], v43, s[4:5] offset:8
	global_load_b64 v[81:82], v59, s[4:5] offset:8
	;; [unrolled: 1-line block ×3, first 2 shown]
	v_lshlrev_b32_e32 v43, 3, v55
	v_lshlrev_b32_e32 v59, 3, v57
	;; [unrolled: 1-line block ×3, first 2 shown]
	s_clause 0x2
	global_load_b64 v[85:86], v43, s[4:5] offset:8
	global_load_b64 v[87:88], v59, s[4:5] offset:8
	;; [unrolled: 1-line block ×3, first 2 shown]
	v_lshrrev_b32_e32 v59, 2, v0
	v_lshrrev_b32_e32 v60, 2, v1
	;; [unrolled: 1-line block ×5, first 2 shown]
	v_mul_u32_u24_e32 v59, 12, v59
	v_mul_u32_u24_e32 v60, 12, v60
	v_mul_u32_u24_e32 v61, 12, v61
	v_mul_u32_u24_e32 v62, 12, v62
	v_mul_u32_u24_e32 v63, 12, v63
	v_mul_u32_u24_e32 v64, 12, v64
	v_or_b32_e32 v59, v59, v52
	v_or_b32_e32 v53, v60, v53
	;; [unrolled: 1-line block ×6, first 2 shown]
	v_lshl_add_u32 v57, v53, 1, 0
	v_lshl_add_u32 v55, v54, 1, 0
	;; [unrolled: 1-line block ×5, first 2 shown]
	v_lshrrev_b32_e32 v43, 2, v9
	v_lshl_add_u32 v59, v59, 1, 0
	global_wb scope:SCOPE_SE
	s_wait_loadcnt_dscnt 0x0
	s_barrier_signal -1
	s_barrier_wait -1
	global_inv scope:SCOPE_SE
	v_lshrrev_b32_e32 v60, 16, v79
	v_lshrrev_b32_e32 v61, 16, v80
	;; [unrolled: 1-line block ×12, first 2 shown]
	v_mul_f16_e32 v72, v56, v60
	v_mul_f16_e32 v73, v58, v61
	;; [unrolled: 1-line block ×25, first 2 shown]
	v_fmac_f16_e32 v72, v37, v79
	v_fmac_f16_e32 v73, v38, v80
	;; [unrolled: 1-line block ×6, first 2 shown]
	v_mul_f16_e32 v98, v22, v74
	v_mul_f16_e32 v101, v31, v75
	;; [unrolled: 1-line block ×3, first 2 shown]
	v_fma_f16 v78, v56, v79, -v91
	v_fma_f16 v75, v58, v80, -v92
	;; [unrolled: 1-line block ×3, first 2 shown]
	v_fmac_f16_e32 v68, v36, v83
	v_fma_f16 v76, v51, v83, -v95
	v_fmac_f16_e32 v70, v23, v84
	v_fmac_f16_e32 v65, v33, v85
	;; [unrolled: 1-line block ×4, first 2 shown]
	v_fma_f16 v51, v45, v79, -v99
	v_fmac_f16_e32 v66, v34, v80
	v_fmac_f16_e32 v60, v31, v87
	;; [unrolled: 1-line block ×3, first 2 shown]
	v_fma_f16 v44, v39, v89, -v103
	v_fma_f16 v29, v49, v90, -v104
	v_add_f16_e32 v22, v72, v73
	v_add_f16_e32 v79, v61, v63
	v_fma_f16 v74, v42, v82, -v94
	v_add_f16_e32 v31, v69, v71
	v_fma_f16 v58, v41, v84, -v96
	v_fma_f16 v56, v48, v85, -v97
	;; [unrolled: 1-line block ×6, first 2 shown]
	v_add_f16_e32 v12, v21, v72
	v_sub_f16_e32 v23, v78, v75
	v_add_f16_e32 v34, v68, v70
	v_add_f16_e32 v36, v16, v65
	;; [unrolled: 1-line block ×6, first 2 shown]
	v_sub_f16_e32 v80, v44, v29
	v_fmac_f16_e32 v21, -0.5, v22
	v_fmac_f16_e32 v10, -0.5, v79
	v_add_f16_e32 v30, v20, v69
	v_sub_f16_e32 v32, v77, v74
	v_fmac_f16_e32 v20, -0.5, v31
	v_add_f16_e32 v33, v19, v68
	v_sub_f16_e32 v35, v76, v58
	v_sub_f16_e32 v38, v56, v48
	v_add_f16_e32 v39, v13, v64
	v_sub_f16_e32 v41, v51, v45
	v_add_f16_e32 v46, v17, v60
	;; [unrolled: 2-line block ×3, first 2 shown]
	v_fmac_f16_e32 v19, -0.5, v34
	v_add_f16_e32 v31, v36, v67
	v_fmac_f16_e32 v16, -0.5, v37
	v_fmac_f16_e32 v13, -0.5, v40
	;; [unrolled: 1-line block ×3, first 2 shown]
	v_add_f16_e32 v12, v50, v63
	v_fmamk_f16 v36, v23, 0xbaee, v21
	v_fmac_f16_e32 v21, 0x3aee, v23
	v_fmamk_f16 v23, v80, 0xbaee, v10
	v_fmac_f16_e32 v10, 0x3aee, v80
	v_add_f16_e32 v22, v30, v71
	v_fmamk_f16 v37, v32, 0xbaee, v20
	v_add_f16_e32 v30, v33, v70
	v_add_f16_e32 v33, v39, v66
	;; [unrolled: 1-line block ×3, first 2 shown]
	v_fmac_f16_e32 v20, 0x3aee, v32
	v_fmamk_f16 v32, v35, 0xbaee, v19
	v_fmac_f16_e32 v19, 0x3aee, v35
	v_fmamk_f16 v35, v38, 0xbaee, v16
	;; [unrolled: 2-line block ×4, first 2 shown]
	v_fmac_f16_e32 v17, 0x3aee, v49
	ds_store_b16 v59, v81
	ds_store_b16 v59, v36 offset:8
	ds_store_b16 v59, v21 offset:16
	ds_store_b16 v57, v22
	ds_store_b16 v57, v37 offset:8
	ds_store_b16 v57, v20 offset:16
	;; [unrolled: 3-line block ×6, first 2 shown]
	s_and_saveexec_b32 s1, s0
	s_cbranch_execz .LBB0_17
; %bb.16:
	v_mul_u32_u24_e32 v13, 12, v43
	s_delay_alu instid0(VALU_DEP_1) | instskip(NEXT) | instid1(VALU_DEP_1)
	v_or_b32_e32 v13, v13, v27
	v_lshl_add_u32 v13, v13, 1, 0
	ds_store_b16 v13, v12
	ds_store_b16 v13, v23 offset:8
	ds_store_b16 v13, v10 offset:16
.LBB0_17:
	s_wait_alu 0xfffe
	s_or_b32 exec_lo, exec_lo, s1
	global_wb scope:SCOPE_SE
	s_wait_dscnt 0x0
	s_barrier_signal -1
	s_barrier_wait -1
	global_inv scope:SCOPE_SE
	ds_load_u16 v33, v5 offset:966
	ds_load_u16 v32, v5 offset:1806
	;; [unrolled: 1-line block ×4, first 2 shown]
	ds_load_u16 v22, v5
	ds_load_u16 v21, v5 offset:126
	ds_load_u16 v20, v5 offset:252
	;; [unrolled: 1-line block ×13, first 2 shown]
	s_and_saveexec_b32 s1, s0
	s_cbranch_execz .LBB0_19
; %bb.18:
	ds_load_u16 v12, v5 offset:756
	ds_load_u16 v23, v5 offset:1596
	;; [unrolled: 1-line block ×3, first 2 shown]
.LBB0_19:
	s_wait_alu 0xfffe
	s_or_b32 exec_lo, exec_lo, s1
	v_add_f16_e32 v13, v78, v75
	v_add_f16_e32 v46, v26, v78
	v_sub_f16_e32 v47, v72, v73
	v_add_f16_e32 v49, v77, v74
	v_add_f16_e32 v50, v76, v58
	v_fmac_f16_e32 v26, -0.5, v13
	v_add_f16_e32 v13, v25, v77
	v_add_f16_e32 v46, v46, v75
	v_fmac_f16_e32 v25, -0.5, v49
	global_wb scope:SCOPE_SE
	s_wait_dscnt 0x0
	v_fmamk_f16 v49, v47, 0x3aee, v26
	v_fmac_f16_e32 v26, 0xbaee, v47
	v_sub_f16_e32 v47, v69, v71
	v_add_f16_e32 v69, v13, v74
	v_add_f16_e32 v13, v24, v76
	v_fmac_f16_e32 v24, -0.5, v50
	v_sub_f16_e32 v50, v68, v70
	v_fmamk_f16 v68, v47, 0x3aee, v25
	v_fmac_f16_e32 v25, 0xbaee, v47
	v_add_f16_e32 v47, v13, v58
	v_add_f16_e32 v13, v56, v48
	v_fmamk_f16 v58, v50, 0x3aee, v24
	v_fmac_f16_e32 v24, 0xbaee, v50
	v_add_f16_e32 v50, v51, v45
	v_add_f16_e32 v56, v15, v56
	v_fmac_f16_e32 v15, -0.5, v13
	v_sub_f16_e32 v13, v65, v67
	v_add_f16_e32 v51, v14, v51
	v_fmac_f16_e32 v14, -0.5, v50
	v_sub_f16_e32 v50, v64, v66
	v_add_f16_e32 v48, v56, v48
	v_fmamk_f16 v56, v13, 0x3aee, v15
	v_fmac_f16_e32 v15, 0xbaee, v13
	v_add_f16_e32 v45, v51, v45
	v_add_f16_e32 v13, v42, v28
	v_fmamk_f16 v51, v50, 0x3aee, v14
	v_fmac_f16_e32 v14, 0xbaee, v50
	v_add_f16_e32 v50, v44, v29
	v_add_f16_e32 v42, v18, v42
	v_fmac_f16_e32 v18, -0.5, v13
	v_sub_f16_e32 v13, v60, v62
	v_add_f16_e32 v44, v11, v44
	v_fmac_f16_e32 v11, -0.5, v50
	v_sub_f16_e32 v50, v61, v63
	v_add_f16_e32 v28, v42, v28
	v_fmamk_f16 v60, v13, 0x3aee, v18
	v_fmac_f16_e32 v18, 0xbaee, v13
	v_add_f16_e32 v13, v44, v29
	v_fmamk_f16 v42, v50, 0x3aee, v11
	v_fmac_f16_e32 v11, 0xbaee, v50
	s_barrier_signal -1
	s_barrier_wait -1
	global_inv scope:SCOPE_SE
	ds_store_b16 v59, v46
	ds_store_b16 v59, v49 offset:8
	ds_store_b16 v59, v26 offset:16
	ds_store_b16 v57, v69
	ds_store_b16 v57, v68 offset:8
	ds_store_b16 v57, v25 offset:16
	ds_store_b16 v55, v47
	ds_store_b16 v55, v58 offset:8
	ds_store_b16 v55, v24 offset:16
	ds_store_b16 v54, v48
	ds_store_b16 v54, v56 offset:8
	ds_store_b16 v54, v15 offset:16
	ds_store_b16 v53, v45
	ds_store_b16 v53, v51 offset:8
	ds_store_b16 v53, v14 offset:16
	ds_store_b16 v52, v28
	ds_store_b16 v52, v60 offset:8
	ds_store_b16 v52, v18 offset:16
	s_and_saveexec_b32 s1, s0
	s_cbranch_execz .LBB0_21
; %bb.20:
	v_mul_u32_u24_e32 v14, 12, v43
	s_delay_alu instid0(VALU_DEP_1) | instskip(NEXT) | instid1(VALU_DEP_1)
	v_or_b32_e32 v14, v14, v27
	v_lshl_add_u32 v14, v14, 1, 0
	ds_store_b16 v14, v13
	ds_store_b16 v14, v42 offset:8
	ds_store_b16 v14, v11 offset:16
.LBB0_21:
	s_wait_alu 0xfffe
	s_or_b32 exec_lo, exec_lo, s1
	global_wb scope:SCOPE_SE
	s_wait_dscnt 0x0
	s_barrier_signal -1
	s_barrier_wait -1
	global_inv scope:SCOPE_SE
	ds_load_u16 v46, v5 offset:966
	ds_load_u16 v45, v5 offset:1806
	;; [unrolled: 1-line block ×4, first 2 shown]
	ds_load_u16 v29, v5
	ds_load_u16 v28, v5 offset:126
	ds_load_u16 v27, v5 offset:252
	;; [unrolled: 1-line block ×13, first 2 shown]
	s_and_saveexec_b32 s1, s0
	s_cbranch_execz .LBB0_23
; %bb.22:
	ds_load_u16 v13, v5 offset:756
	ds_load_u16 v42, v5 offset:1596
	;; [unrolled: 1-line block ×3, first 2 shown]
.LBB0_23:
	s_wait_alu 0xfffe
	s_or_b32 exec_lo, exec_lo, s1
	v_and_b32_e32 v55, 0xff, v0
	v_and_b32_e32 v18, 0xff, v1
	;; [unrolled: 1-line block ×5, first 2 shown]
	v_mul_lo_u16 v55, 0xab, v55
	v_mul_lo_u16 v56, 0xab, v18
	;; [unrolled: 1-line block ×4, first 2 shown]
	v_and_b32_e32 v58, 0xffff, v8
	v_and_b32_e32 v59, 0xffff, v9
	v_lshrrev_b16 v55, 11, v55
	v_lshrrev_b16 v56, 11, v56
	v_mul_u32_u24_e32 v57, 0xaaab, v57
	v_lshrrev_b16 v60, 11, v60
	v_lshrrev_b16 v61, 11, v61
	v_mul_u32_u24_e32 v58, 0xaaab, v58
	v_mul_u32_u24_e32 v59, 0xaaab, v59
	v_mul_lo_u16 v62, v55, 12
	v_mul_lo_u16 v63, v56, 12
	v_lshrrev_b32_e32 v57, 19, v57
	v_mul_lo_u16 v64, v60, 12
	v_mul_lo_u16 v65, v61, 12
	v_lshrrev_b32_e32 v58, 19, v58
	v_lshrrev_b32_e32 v59, 19, v59
	v_sub_nc_u16 v62, v0, v62
	v_sub_nc_u16 v63, v1, v63
	;; [unrolled: 1-line block ×4, first 2 shown]
	v_mul_lo_u16 v68, v57, 12
	v_mul_lo_u16 v69, v58, 12
	;; [unrolled: 1-line block ×3, first 2 shown]
	v_and_b32_e32 v62, 0xff, v62
	v_and_b32_e32 v63, 0xff, v63
	;; [unrolled: 1-line block ×4, first 2 shown]
	v_sub_nc_u16 v7, v7, v68
	v_sub_nc_u16 v8, v8, v69
	;; [unrolled: 1-line block ×3, first 2 shown]
	v_lshlrev_b32_e32 v66, 3, v62
	v_lshlrev_b32_e32 v67, 3, v63
	;; [unrolled: 1-line block ×4, first 2 shown]
	v_and_b32_e32 v7, 0xffff, v7
	v_and_b32_e32 v8, 0xffff, v8
	;; [unrolled: 1-line block ×3, first 2 shown]
	s_clause 0x3
	global_load_b64 v[75:76], v66, s[4:5] offset:40
	global_load_b64 v[77:78], v67, s[4:5] offset:40
	;; [unrolled: 1-line block ×4, first 2 shown]
	v_lshlrev_b32_e32 v66, 3, v7
	v_lshlrev_b32_e32 v67, 3, v8
	;; [unrolled: 1-line block ×3, first 2 shown]
	s_clause 0x2
	global_load_b64 v[83:84], v66, s[4:5] offset:40
	global_load_b64 v[85:86], v67, s[4:5] offset:40
	;; [unrolled: 1-line block ×3, first 2 shown]
	v_and_b32_e32 v66, 0xffff, v55
	v_and_b32_e32 v56, 0xffff, v56
	;; [unrolled: 1-line block ×4, first 2 shown]
	v_mul_u32_u24_e32 v57, 0x48, v57
	v_mul_u32_u24_e32 v67, 0x48, v58
	v_mul_lo_u16 v55, v59, 36
	v_mul_u32_u24_e32 v58, 0x48, v66
	v_mul_u32_u24_e32 v59, 0x48, v56
	;; [unrolled: 1-line block ×4, first 2 shown]
	v_lshlrev_b32_e32 v61, 1, v62
	v_lshlrev_b32_e32 v63, 1, v63
	;; [unrolled: 1-line block ×6, first 2 shown]
	v_add3_u32 v62, 0, v58, v61
	v_add3_u32 v61, 0, v59, v63
	;; [unrolled: 1-line block ×5, first 2 shown]
	v_lshlrev_b32_e32 v56, 1, v9
	v_add3_u32 v59, 0, v66, v65
	global_wb scope:SCOPE_SE
	s_wait_loadcnt_dscnt 0x0
	s_barrier_signal -1
	s_barrier_wait -1
	global_inv scope:SCOPE_SE
	v_lshrrev_b32_e32 v7, 16, v75
	v_lshrrev_b32_e32 v8, 16, v76
	;; [unrolled: 1-line block ×14, first 2 shown]
	v_mul_f16_e32 v73, v53, v7
	v_mul_f16_e32 v74, v54, v8
	;; [unrolled: 1-line block ×22, first 2 shown]
	v_fmac_f16_e32 v73, v40, v75
	v_fmac_f16_e32 v74, v41, v76
	;; [unrolled: 1-line block ×4, first 2 shown]
	v_mul_f16_e32 v7, v40, v7
	v_fmac_f16_e32 v71, v33, v77
	v_fmac_f16_e32 v72, v32, v78
	v_mul_f16_e32 v89, v30, v89
	v_mul_f16_e32 v90, v34, v90
	;; [unrolled: 1-line block ×5, first 2 shown]
	v_fmac_f16_e32 v68, v39, v79
	v_fma_f16 v41, v52, v79, -v99
	v_fmac_f16_e32 v70, v31, v80
	v_fmac_f16_e32 v67, v37, v81
	;; [unrolled: 1-line block ×7, first 2 shown]
	v_fma_f16 v38, v42, v87, -v94
	v_fma_f16 v37, v11, v88, -v95
	v_add_f16_e32 v11, v73, v74
	v_add_f16_e32 v79, v63, v64
	v_fma_f16 v75, v53, v75, -v7
	v_fma_f16 v53, v54, v76, -v96
	;; [unrolled: 1-line block ×4, first 2 shown]
	v_add_f16_e32 v36, v71, v72
	v_fma_f16 v39, v44, v80, -v100
	v_fma_f16 v40, v50, v81, -v101
	;; [unrolled: 1-line block ×7, first 2 shown]
	v_add_f16_e32 v7, v22, v73
	v_add_f16_e32 v44, v68, v70
	;; [unrolled: 1-line block ×5, first 2 shown]
	v_sub_f16_e32 v10, v38, v37
	v_fmac_f16_e32 v22, -0.5, v11
	v_fma_f16 v11, -0.5, v79, v12
	v_sub_f16_e32 v23, v75, v53
	v_add_f16_e32 v35, v21, v71
	v_sub_f16_e32 v42, v46, v45
	v_fmac_f16_e32 v21, -0.5, v36
	v_add_f16_e32 v43, v20, v68
	v_sub_f16_e32 v47, v41, v39
	v_add_f16_e32 v48, v17, v67
	v_sub_f16_e32 v50, v40, v33
	v_add_f16_e32 v51, v16, v65
	v_sub_f16_e32 v54, v34, v32
	v_add_f16_e32 v76, v19, v8
	v_sub_f16_e32 v78, v31, v30
	v_add_f16_e32 v80, v7, v74
	v_fmac_f16_e32 v20, -0.5, v44
	v_fmac_f16_e32 v17, -0.5, v49
	;; [unrolled: 1-line block ×4, first 2 shown]
	v_fmamk_f16 v7, v10, 0x3aee, v11
	v_fmamk_f16 v49, v23, 0xbaee, v22
	v_fmac_f16_e32 v22, 0x3aee, v23
	v_add_f16_e32 v35, v35, v72
	v_fmamk_f16 v23, v42, 0xbaee, v21
	v_add_f16_e32 v36, v43, v70
	v_add_f16_e32 v43, v48, v69
	;; [unrolled: 1-line block ×4, first 2 shown]
	v_fmac_f16_e32 v21, 0x3aee, v42
	v_fmamk_f16 v42, v47, 0xbaee, v20
	v_fmac_f16_e32 v20, 0x3aee, v47
	v_fmamk_f16 v47, v50, 0xbaee, v17
	v_fmac_f16_e32 v17, 0x3aee, v50
	v_fmamk_f16 v50, v54, 0xbaee, v16
	v_fmac_f16_e32 v16, 0x3aee, v54
	v_fmamk_f16 v51, v78, 0xbaee, v19
	v_fmac_f16_e32 v19, 0x3aee, v78
	ds_store_b16 v62, v80
	ds_store_b16 v62, v49 offset:24
	ds_store_b16 v62, v22 offset:48
	ds_store_b16 v61, v35
	ds_store_b16 v61, v23 offset:24
	ds_store_b16 v61, v21 offset:48
	;; [unrolled: 3-line block ×6, first 2 shown]
	s_and_saveexec_b32 s1, s0
	s_cbranch_execz .LBB0_25
; %bb.24:
	v_and_b32_e32 v16, 0xffff, v55
	v_add_f16_e32 v12, v12, v63
	v_mul_f16_e32 v10, 0x3aee, v10
	s_delay_alu instid0(VALU_DEP_3) | instskip(NEXT) | instid1(VALU_DEP_3)
	v_lshlrev_b32_e32 v16, 1, v16
	v_add_f16_e32 v12, v12, v64
	s_delay_alu instid0(VALU_DEP_3) | instskip(NEXT) | instid1(VALU_DEP_3)
	v_sub_f16_e32 v10, v11, v10
	v_add3_u32 v16, 0, v56, v16
	ds_store_b16 v16, v12
	ds_store_b16 v16, v10 offset:24
	ds_store_b16 v16, v7 offset:48
.LBB0_25:
	s_wait_alu 0xfffe
	s_or_b32 exec_lo, exec_lo, s1
	v_add_f16_e32 v10, v75, v53
	v_add_f16_e32 v11, v29, v75
	v_sub_f16_e32 v12, v73, v74
	v_add_f16_e32 v16, v46, v45
	v_sub_f16_e32 v17, v71, v72
	v_fmac_f16_e32 v29, -0.5, v10
	v_add_f16_e32 v10, v28, v46
	v_add_f16_e32 v46, v11, v53
	;; [unrolled: 1-line block ×3, first 2 shown]
	v_fmac_f16_e32 v28, -0.5, v16
	v_fmamk_f16 v47, v12, 0x3aee, v29
	v_add_f16_e32 v45, v10, v45
	v_add_f16_e32 v10, v41, v39
	v_fmac_f16_e32 v29, 0xbaee, v12
	v_add_f16_e32 v12, v40, v33
	v_add_f16_e32 v39, v11, v39
	;; [unrolled: 1-line block ×3, first 2 shown]
	v_fmac_f16_e32 v27, -0.5, v10
	v_sub_f16_e32 v10, v68, v70
	v_fmac_f16_e32 v25, -0.5, v12
	v_sub_f16_e32 v12, v67, v69
	v_add_f16_e32 v16, v34, v32
	v_add_f16_e32 v49, v11, v33
	v_fmamk_f16 v40, v10, 0x3aee, v27
	v_fmac_f16_e32 v27, 0xbaee, v10
	v_add_f16_e32 v10, v24, v34
	v_fmamk_f16 v50, v12, 0x3aee, v25
	v_fmac_f16_e32 v24, -0.5, v16
	v_sub_f16_e32 v11, v65, v66
	v_fmac_f16_e32 v25, 0xbaee, v12
	v_add_f16_e32 v12, v31, v30
	v_add_f16_e32 v51, v10, v32
	;; [unrolled: 1-line block ×4, first 2 shown]
	v_fmamk_f16 v48, v17, 0x3aee, v28
	v_fmac_f16_e32 v28, 0xbaee, v17
	v_fmamk_f16 v52, v11, 0x3aee, v24
	v_fmac_f16_e32 v26, -0.5, v12
	v_sub_f16_e32 v8, v8, v9
	v_fma_f16 v19, -0.5, v10, v13
	v_fmac_f16_e32 v24, 0xbaee, v11
	v_add_f16_e32 v53, v16, v30
	global_wb scope:SCOPE_SE
	s_wait_dscnt 0x0
	s_barrier_signal -1
	s_barrier_wait -1
	global_inv scope:SCOPE_SE
	ds_load_u16 v16, v5
	ds_load_u16 v17, v5 offset:126
	ds_load_u16 v21, v5 offset:252
	;; [unrolled: 1-line block ×19, first 2 shown]
	v_sub_f16_e32 v20, v63, v64
	v_fmamk_f16 v54, v8, 0x3aee, v26
	v_fmac_f16_e32 v26, 0xbaee, v8
	global_wb scope:SCOPE_SE
	s_wait_dscnt 0x0
	s_barrier_signal -1
	v_fmamk_f16 v8, v20, 0xbaee, v19
	s_barrier_wait -1
	global_inv scope:SCOPE_SE
	ds_store_b16 v62, v46
	ds_store_b16 v62, v47 offset:24
	ds_store_b16 v62, v29 offset:48
	ds_store_b16 v61, v45
	ds_store_b16 v61, v48 offset:24
	ds_store_b16 v61, v28 offset:48
	ds_store_b16 v60, v39
	ds_store_b16 v60, v40 offset:24
	ds_store_b16 v60, v27 offset:48
	ds_store_b16 v59, v49
	ds_store_b16 v59, v50 offset:24
	ds_store_b16 v59, v25 offset:48
	ds_store_b16 v58, v51
	ds_store_b16 v58, v52 offset:24
	ds_store_b16 v58, v24 offset:48
	ds_store_b16 v57, v53
	ds_store_b16 v57, v54 offset:24
	ds_store_b16 v57, v26 offset:48
	s_and_saveexec_b32 s1, s0
	s_cbranch_execz .LBB0_27
; %bb.26:
	v_and_b32_e32 v24, 0xffff, v55
	v_add_f16_e32 v13, v13, v38
	v_mul_f16_e32 v20, 0x3aee, v20
	s_delay_alu instid0(VALU_DEP_3) | instskip(NEXT) | instid1(VALU_DEP_3)
	v_lshlrev_b32_e32 v24, 1, v24
	v_add_f16_e32 v13, v13, v37
	s_delay_alu instid0(VALU_DEP_3) | instskip(NEXT) | instid1(VALU_DEP_3)
	v_add_f16_e32 v19, v20, v19
	v_add3_u32 v24, 0, v56, v24
	ds_store_b16 v24, v13
	ds_store_b16 v24, v19 offset:24
	ds_store_b16 v24, v8 offset:48
.LBB0_27:
	s_wait_alu 0xfffe
	s_or_b32 exec_lo, exec_lo, s1
	v_mul_lo_u16 v13, v18, 57
	v_subrev_nc_u32_e32 v18, 36, v0
	v_cmp_gt_u32_e64 s0, 36, v0
	v_mul_lo_u16 v19, v15, 57
	global_wb scope:SCOPE_SE
	s_wait_dscnt 0x0
	v_lshrrev_b16 v24, 11, v13
	v_mul_lo_u16 v13, v14, 57
	s_wait_alu 0xf1ff
	v_cndmask_b32_e64 v29, v18, v0, s0
	v_mov_b32_e32 v15, 0
	v_lshrrev_b16 v37, 11, v19
	v_mul_lo_u16 v18, v24, 36
	v_lshrrev_b16 v38, 11, v13
	v_lshlrev_b32_e32 v14, 2, v29
	s_barrier_signal -1
	v_mul_lo_u16 v19, v37, 36
	v_sub_nc_u16 v18, v1, v18
	s_barrier_wait -1
	v_lshlrev_b64_e32 v[13:14], 2, v[14:15]
	v_mul_lo_u16 v15, v38, 36
	v_sub_nc_u16 v19, v4, v19
	v_and_b32_e32 v39, 0xff, v18
	global_inv scope:SCOPE_SE
	v_lshlrev_b32_e32 v29, 1, v29
	v_add_co_u32 v13, s0, s4, v13
	s_wait_alu 0xf1ff
	v_add_co_ci_u32_e64 v14, s0, s5, v14, s0
	v_sub_nc_u16 v6, v6, v15
	v_lshlrev_b32_e32 v18, 4, v39
	v_and_b32_e32 v15, 0xff, v19
	global_load_b128 v[25:28], v[13:14], off offset:136
	v_cmp_lt_u32_e64 s0, 35, v0
	v_and_b32_e32 v24, 0xffff, v24
	global_load_b128 v[69:72], v18, s[4:5] offset:136
	v_and_b32_e32 v13, 0xff, v6
	v_lshlrev_b32_e32 v6, 4, v15
	s_wait_alu 0xf1ff
	v_cndmask_b32_e64 v40, 0, 0x168, s0
	v_and_b32_e32 v37, 0xffff, v37
	v_and_b32_e32 v45, 0xffff, v38
	v_lshlrev_b32_e32 v14, 4, v13
	s_clause 0x1
	global_load_b128 v[73:76], v6, s[4:5] offset:136
	global_load_b128 v[77:80], v14, s[4:5] offset:136
	ds_load_u16 v20, v5
	ds_load_u16 v19, v5 offset:126
	ds_load_u16 v18, v5 offset:252
	;; [unrolled: 1-line block ×19, first 2 shown]
	v_add3_u32 v38, 0, v40, v29
	v_mul_u32_u24_e32 v24, 0x168, v24
	v_mul_u32_u24_e32 v29, 0x168, v37
	v_lshlrev_b32_e32 v39, 1, v39
	v_lshlrev_b32_e32 v15, 1, v15
	v_mul_u32_u24_e32 v37, 0x168, v45
	v_lshlrev_b32_e32 v13, 1, v13
	global_wb scope:SCOPE_SE
	s_wait_loadcnt_dscnt 0x0
	v_add3_u32 v40, 0, v24, v39
	v_add3_u32 v39, 0, v29, v15
	s_barrier_signal -1
	v_add3_u32 v37, 0, v37, v13
	s_barrier_wait -1
	global_inv scope:SCOPE_SE
	v_cmp_gt_u32_e64 s0, 54, v0
	v_lshrrev_b32_e32 v15, 16, v26
	v_lshrrev_b32_e32 v24, 16, v27
	;; [unrolled: 1-line block ×8, first 2 shown]
	v_mul_f16_e32 v62, v14, v15
	v_mul_f16_e32 v63, v59, v24
	;; [unrolled: 1-line block ×4, first 2 shown]
	v_lshrrev_b32_e32 v51, 16, v73
	v_lshrrev_b32_e32 v53, 16, v74
	;; [unrolled: 1-line block ×8, first 2 shown]
	v_mul_f16_e32 v92, v34, v15
	v_mul_f16_e32 v56, v55, v45
	;; [unrolled: 1-line block ×22, first 2 shown]
	v_fmac_f16_e32 v62, v34, v26
	v_fmac_f16_e32 v63, v43, v27
	;; [unrolled: 1-line block ×8, first 2 shown]
	v_mul_f16_e32 v100, v32, v64
	v_mul_f16_e32 v101, v35, v67
	;; [unrolled: 1-line block ×6, first 2 shown]
	v_fmac_f16_e32 v52, v22, v73
	v_fmac_f16_e32 v50, v10, v74
	;; [unrolled: 1-line block ×8, first 2 shown]
	v_fma_f16 v67, v57, v25, -v13
	v_fma_f16 v66, v66, v28, -v29
	v_add_f16_e32 v11, v62, v63
	v_fma_f16 v68, v14, v26, -v92
	v_fma_f16 v64, v59, v27, -v93
	v_add_f16_e32 v26, v61, v65
	v_fma_f16 v55, v55, v69, -v94
	v_fma_f16 v57, v48, v70, -v95
	;; [unrolled: 1-line block ×4, first 2 shown]
	v_sub_f16_e32 v27, v62, v61
	v_sub_f16_e32 v28, v63, v65
	v_add_f16_e32 v30, v15, v54
	v_add_f16_e32 v35, v56, v60
	v_fma_f16 v22, v81, v73, -v98
	v_fma_f16 v23, v49, v74, -v99
	;; [unrolled: 1-line block ×8, first 2 shown]
	v_add_f16_e32 v10, v16, v61
	v_sub_f16_e32 v12, v61, v62
	v_sub_f16_e32 v13, v65, v63
	v_add_f16_e32 v29, v17, v56
	v_add_f16_e32 v70, v21, v52
	;; [unrolled: 1-line block ×6, first 2 shown]
	v_sub_f16_e32 v14, v67, v66
	v_fma_f16 v89, -0.5, v11, v16
	v_sub_f16_e32 v25, v68, v64
	v_fmac_f16_e32 v16, -0.5, v26
	v_sub_f16_e32 v31, v55, v59
	v_sub_f16_e32 v32, v57, v58
	;; [unrolled: 1-line block ×4, first 2 shown]
	v_add_f16_e32 v26, v27, v28
	v_fma_f16 v27, -0.5, v30, v17
	v_fmac_f16_e32 v17, -0.5, v35
	v_sub_f16_e32 v33, v56, v15
	v_sub_f16_e32 v34, v60, v54
	v_sub_f16_e32 v36, v15, v56
	v_sub_f16_e32 v69, v54, v60
	v_sub_f16_e32 v72, v22, v49
	v_sub_f16_e32 v73, v23, v48
	v_sub_f16_e32 v77, v50, v52
	v_sub_f16_e32 v78, v51, v53
	v_add_f16_e32 v79, v9, v46
	v_sub_f16_e32 v81, v42, v41
	v_sub_f16_e32 v82, v43, v44
	v_add_f16_e32 v88, v10, v62
	v_add_f16_e32 v90, v12, v13
	;; [unrolled: 1-line block ×4, first 2 shown]
	v_fma_f16 v10, -0.5, v71, v21
	v_fmac_f16_e32 v21, -0.5, v76
	v_fma_f16 v11, -0.5, v80, v9
	v_fmac_f16_e32 v9, -0.5, v85
	v_fmamk_f16 v70, v14, 0xbb9c, v89
	v_fmamk_f16 v71, v25, 0x3b9c, v16
	v_fmac_f16_e32 v16, 0xbb9c, v25
	v_add_f16_e32 v30, v74, v75
	v_fmac_f16_e32 v89, 0x3b9c, v14
	v_fmamk_f16 v75, v31, 0xbb9c, v27
	v_fmac_f16_e32 v27, 0x3b9c, v31
	v_fmamk_f16 v76, v32, 0x3b9c, v17
	v_fmac_f16_e32 v17, 0xbb9c, v32
	v_sub_f16_e32 v83, v46, v24
	v_sub_f16_e32 v84, v47, v45
	;; [unrolled: 1-line block ×4, first 2 shown]
	v_add_f16_e32 v28, v33, v34
	v_add_f16_e32 v29, v36, v69
	;; [unrolled: 1-line block ×7, first 2 shown]
	v_fmamk_f16 v78, v72, 0xbb9c, v10
	v_fmac_f16_e32 v10, 0x3b9c, v72
	v_fmamk_f16 v79, v73, 0x3b9c, v21
	v_fmac_f16_e32 v21, 0xbb9c, v73
	;; [unrolled: 2-line block ×4, first 2 shown]
	v_fmac_f16_e32 v70, 0xb8b4, v25
	v_fmac_f16_e32 v71, 0xb8b4, v14
	;; [unrolled: 1-line block ×6, first 2 shown]
	v_add_f16_e32 v35, v83, v84
	v_add_f16_e32 v36, v86, v87
	;; [unrolled: 1-line block ×4, first 2 shown]
	v_fmac_f16_e32 v75, 0xb8b4, v32
	v_fmac_f16_e32 v76, 0xb8b4, v31
	;; [unrolled: 1-line block ×13, first 2 shown]
	v_add_f16_e32 v25, v74, v60
	v_add_f16_e32 v31, v77, v53
	v_fmac_f16_e32 v89, 0x34f2, v90
	v_fmac_f16_e32 v27, 0x34f2, v28
	;; [unrolled: 1-line block ×3, first 2 shown]
	v_add_f16_e32 v14, v34, v47
	v_fmac_f16_e32 v75, 0x34f2, v28
	v_fmac_f16_e32 v76, 0x34f2, v29
	;; [unrolled: 1-line block ×10, first 2 shown]
	ds_store_b16 v38, v69
	ds_store_b16 v38, v70 offset:72
	ds_store_b16 v38, v71 offset:144
	ds_store_b16 v38, v16 offset:216
	ds_store_b16 v38, v89 offset:288
	ds_store_b16 v40, v25
	ds_store_b16 v40, v75 offset:72
	ds_store_b16 v40, v76 offset:144
	ds_store_b16 v40, v17 offset:216
	ds_store_b16 v40, v27 offset:288
	;; [unrolled: 5-line block ×4, first 2 shown]
	global_wb scope:SCOPE_SE
	s_wait_dscnt 0x0
	s_barrier_signal -1
	s_barrier_wait -1
	global_inv scope:SCOPE_SE
	ds_load_u16 v16, v5
	ds_load_u16 v25, v5 offset:1440
	ds_load_u16 v31, v5 offset:1206
	;; [unrolled: 1-line block ×13, first 2 shown]
	s_and_saveexec_b32 s1, s0
	s_cbranch_execz .LBB0_29
; %bb.28:
	ds_load_u16 v10, v5 offset:252
	ds_load_u16 v14, v5 offset:612
	;; [unrolled: 1-line block ×7, first 2 shown]
.LBB0_29:
	s_wait_alu 0xfffe
	s_or_b32 exec_lo, exec_lo, s1
	v_add_f16_e32 v21, v68, v64
	v_add_f16_e32 v69, v20, v67
	v_sub_f16_e32 v61, v61, v65
	v_sub_f16_e32 v62, v62, v63
	;; [unrolled: 1-line block ×3, first 2 shown]
	v_fma_f16 v65, -0.5, v21, v20
	v_sub_f16_e32 v21, v66, v64
	v_add_f16_e32 v70, v67, v66
	v_add_f16_e32 v69, v69, v68
	v_sub_f16_e32 v67, v68, v67
	v_fmamk_f16 v68, v61, 0x3b9c, v65
	v_add_f16_e32 v21, v63, v21
	v_fmac_f16_e32 v20, -0.5, v70
	v_add_f16_e32 v63, v69, v64
	v_fmac_f16_e32 v65, 0xbb9c, v61
	v_sub_f16_e32 v64, v64, v66
	v_add_f16_e32 v70, v57, v58
	v_fmamk_f16 v69, v62, 0xbb9c, v20
	v_add_f16_e32 v63, v63, v66
	v_add_f16_e32 v66, v19, v55
	v_fmac_f16_e32 v20, 0x3b9c, v62
	v_fmac_f16_e32 v68, 0x38b4, v62
	;; [unrolled: 1-line block ×4, first 2 shown]
	v_add_f16_e32 v62, v66, v57
	v_fma_f16 v66, -0.5, v70, v19
	v_sub_f16_e32 v56, v56, v60
	v_fmac_f16_e32 v20, 0xb8b4, v61
	v_add_f16_e32 v61, v55, v59
	v_fmac_f16_e32 v68, 0x34f2, v21
	v_fmac_f16_e32 v65, 0x34f2, v21
	v_add_f16_e32 v21, v62, v58
	v_fmamk_f16 v60, v56, 0x3b9c, v66
	v_sub_f16_e32 v15, v15, v54
	v_sub_f16_e32 v54, v55, v57
	;; [unrolled: 1-line block ×3, first 2 shown]
	v_fmac_f16_e32 v19, -0.5, v61
	v_fmac_f16_e32 v66, 0xbb9c, v56
	v_sub_f16_e32 v55, v57, v55
	v_sub_f16_e32 v57, v58, v59
	v_add_f16_e32 v58, v23, v48
	v_add_f16_e32 v61, v21, v59
	v_fmac_f16_e32 v60, 0x38b4, v15
	v_add_f16_e32 v21, v54, v62
	v_fmamk_f16 v54, v15, 0xbb9c, v19
	v_fmac_f16_e32 v66, 0xb8b4, v15
	v_add_f16_e32 v55, v55, v57
	v_fmac_f16_e32 v19, 0x3b9c, v15
	v_add_f16_e32 v57, v18, v22
	v_fma_f16 v15, -0.5, v58, v18
	v_sub_f16_e32 v52, v52, v53
	v_fmac_f16_e32 v60, 0x34f2, v21
	v_fmac_f16_e32 v54, 0x38b4, v56
	;; [unrolled: 1-line block ×4, first 2 shown]
	v_add_f16_e32 v21, v57, v23
	v_fmamk_f16 v53, v52, 0x3b9c, v15
	v_sub_f16_e32 v50, v50, v51
	v_sub_f16_e32 v51, v22, v23
	;; [unrolled: 1-line block ×3, first 2 shown]
	v_fmac_f16_e32 v15, 0xbb9c, v52
	v_add_f16_e32 v57, v22, v49
	v_add_f16_e32 v21, v21, v48
	v_fmac_f16_e32 v53, 0x38b4, v50
	v_add_f16_e32 v51, v51, v56
	v_fmac_f16_e32 v15, 0xb8b4, v50
	v_fmac_f16_e32 v18, -0.5, v57
	v_sub_f16_e32 v22, v23, v22
	v_sub_f16_e32 v23, v48, v49
	v_add_f16_e32 v48, v6, v42
	v_fmac_f16_e32 v54, 0x34f2, v55
	v_fmac_f16_e32 v19, 0x34f2, v55
	v_add_f16_e32 v55, v21, v49
	v_fmac_f16_e32 v53, 0x34f2, v51
	v_fmac_f16_e32 v15, 0x34f2, v51
	v_fmamk_f16 v51, v50, 0xbb9c, v18
	v_add_f16_e32 v21, v43, v44
	v_fmac_f16_e32 v18, 0x3b9c, v50
	v_sub_f16_e32 v46, v46, v47
	v_add_f16_e32 v47, v48, v43
	v_add_f16_e32 v48, v42, v41
	v_fma_f16 v21, -0.5, v21, v6
	v_fmac_f16_e32 v51, 0x38b4, v52
	v_add_f16_e32 v23, v22, v23
	v_fmac_f16_e32 v18, 0xb8b4, v52
	v_sub_f16_e32 v24, v24, v45
	v_fmac_f16_e32 v6, -0.5, v48
	v_fmamk_f16 v22, v46, 0x3b9c, v21
	v_fmac_f16_e32 v51, 0x34f2, v23
	v_fmac_f16_e32 v18, 0x34f2, v23
	v_add_f16_e32 v45, v47, v44
	v_sub_f16_e32 v47, v42, v43
	v_sub_f16_e32 v48, v41, v44
	v_fmac_f16_e32 v21, 0xbb9c, v46
	v_fmamk_f16 v23, v24, 0xbb9c, v6
	v_sub_f16_e32 v42, v43, v42
	v_sub_f16_e32 v43, v44, v41
	v_fmac_f16_e32 v6, 0x3b9c, v24
	v_add_f16_e32 v64, v67, v64
	v_fmac_f16_e32 v22, 0x38b4, v24
	v_add_f16_e32 v44, v47, v48
	v_fmac_f16_e32 v21, 0xb8b4, v24
	v_fmac_f16_e32 v23, 0x38b4, v46
	v_add_f16_e32 v42, v42, v43
	v_fmac_f16_e32 v6, 0xb8b4, v46
	v_fmac_f16_e32 v69, 0x34f2, v64
	;; [unrolled: 1-line block ×3, first 2 shown]
	v_add_f16_e32 v24, v45, v41
	v_fmac_f16_e32 v22, 0x34f2, v44
	v_fmac_f16_e32 v21, 0x34f2, v44
	;; [unrolled: 1-line block ×4, first 2 shown]
	global_wb scope:SCOPE_SE
	s_wait_dscnt 0x0
	s_barrier_signal -1
	s_barrier_wait -1
	global_inv scope:SCOPE_SE
	ds_store_b16 v38, v63
	ds_store_b16 v38, v68 offset:72
	ds_store_b16 v38, v69 offset:144
	ds_store_b16 v38, v20 offset:216
	ds_store_b16 v38, v65 offset:288
	ds_store_b16 v40, v61
	ds_store_b16 v40, v60 offset:72
	ds_store_b16 v40, v54 offset:144
	ds_store_b16 v40, v19 offset:216
	ds_store_b16 v40, v66 offset:288
	;; [unrolled: 5-line block ×4, first 2 shown]
	global_wb scope:SCOPE_SE
	s_wait_dscnt 0x0
	s_barrier_signal -1
	s_barrier_wait -1
	global_inv scope:SCOPE_SE
	ds_load_u16 v18, v5
	ds_load_u16 v20, v5 offset:1440
	ds_load_u16 v43, v5 offset:1206
	;; [unrolled: 1-line block ×13, first 2 shown]
	s_and_saveexec_b32 s1, s0
	s_cbranch_execz .LBB0_31
; %bb.30:
	ds_load_u16 v15, v5 offset:252
	ds_load_u16 v24, v5 offset:612
	ds_load_u16 v22, v5 offset:972
	ds_load_u16 v23, v5 offset:1332
	ds_load_u16 v6, v5 offset:1692
	ds_load_u16 v21, v5 offset:2052
	ds_load_u16 v8, v5 offset:2412
.LBB0_31:
	s_wait_alu 0xfffe
	s_or_b32 exec_lo, exec_lo, s1
	s_and_saveexec_b32 s1, vcc_lo
	s_cbranch_execz .LBB0_34
; %bb.32:
	v_mul_u32_u24_e32 v1, 6, v1
	v_mul_u32_u24_e32 v5, 6, v0
	v_add_co_u32 v2, vcc_lo, s8, v2
	s_wait_alu 0xfffd
	v_add_co_ci_u32_e32 v3, vcc_lo, s9, v3, vcc_lo
	v_lshlrev_b32_e32 v1, 2, v1
	v_lshlrev_b32_e32 v5, 2, v5
	s_clause 0x3
	global_load_b128 v[48:51], v1, s[4:5] offset:712
	global_load_b64 v[56:57], v1, s[4:5] offset:728
	global_load_b128 v[52:55], v5, s[4:5] offset:712
	global_load_b64 v[58:59], v5, s[4:5] offset:728
	v_mov_b32_e32 v1, 0
	s_delay_alu instid0(VALU_DEP_1) | instskip(NEXT) | instid1(VALU_DEP_1)
	v_lshlrev_b64_e32 v[60:61], 2, v[0:1]
	v_add_co_u32 v2, vcc_lo, v2, v60
	s_wait_alu 0xfffd
	s_delay_alu instid0(VALU_DEP_2)
	v_add_co_ci_u32_e32 v3, vcc_lo, v3, v61, vcc_lo
	s_wait_loadcnt 0x2
	v_lshrrev_b32_e32 v63, 16, v56
	v_lshrrev_b32_e32 v5, 16, v48
	;; [unrolled: 1-line block ×6, first 2 shown]
	s_wait_loadcnt 0x1
	v_lshrrev_b32_e32 v65, 16, v52
	v_lshrrev_b32_e32 v66, 16, v53
	;; [unrolled: 1-line block ×4, first 2 shown]
	s_wait_loadcnt 0x0
	v_lshrrev_b32_e32 v69, 16, v58
	v_lshrrev_b32_e32 v70, 16, v59
	s_wait_dscnt 0x7
	v_mul_f16_e32 v71, v44, v5
	s_wait_dscnt 0x4
	v_mul_f16_e32 v72, v46, v64
	;; [unrolled: 2-line block ×3, first 2 shown]
	v_mul_f16_e32 v74, v43, v61
	v_mul_f16_e32 v75, v41, v60
	;; [unrolled: 1-line block ×21, first 2 shown]
	v_fmac_f16_e32 v71, v33, v48
	v_fmac_f16_e32 v72, v35, v57
	;; [unrolled: 1-line block ×6, first 2 shown]
	v_fma_f16 v31, v46, v57, -v64
	v_fma_f16 v5, v44, v48, -v5
	;; [unrolled: 1-line block ×6, first 2 shown]
	v_fmac_f16_e32 v77, v28, v52
	v_fmac_f16_e32 v78, v30, v59
	;; [unrolled: 1-line block ×6, first 2 shown]
	v_fma_f16 v25, v42, v59, -v70
	v_fma_f16 v26, v39, v52, -v65
	;; [unrolled: 1-line block ×6, first 2 shown]
	v_sub_f16_e32 v30, v71, v72
	v_sub_f16_e32 v36, v73, v74
	;; [unrolled: 1-line block ×3, first 2 shown]
	v_add_f16_e32 v38, v5, v31
	v_add_f16_e32 v39, v33, v32
	;; [unrolled: 1-line block ×6, first 2 shown]
	v_sub_f16_e32 v5, v5, v31
	v_sub_f16_e32 v31, v33, v32
	;; [unrolled: 1-line block ×3, first 2 shown]
	v_add_f16_e32 v44, v26, v25
	v_add_f16_e32 v46, v29, v28
	;; [unrolled: 1-line block ×4, first 2 shown]
	v_sub_f16_e32 v33, v77, v78
	v_sub_f16_e32 v34, v79, v80
	;; [unrolled: 1-line block ×3, first 2 shown]
	v_add_f16_e32 v45, v20, v27
	v_add_f16_e32 v48, v79, v80
	v_sub_f16_e32 v25, v26, v25
	v_sub_f16_e32 v20, v20, v27
	;; [unrolled: 1-line block ×4, first 2 shown]
	v_add_f16_e32 v29, v36, v37
	v_sub_f16_e32 v50, v39, v40
	v_add_f16_e32 v51, v38, v40
	v_sub_f16_e32 v52, v41, v42
	v_sub_f16_e32 v53, v42, v43
	v_add_f16_e32 v54, v41, v43
	v_sub_f16_e32 v55, v5, v31
	;; [unrolled: 3-line block ×3, first 2 shown]
	v_sub_f16_e32 v32, v32, v5
	v_add_f16_e32 v59, v44, v46
	v_add_f16_e32 v62, v47, v49
	v_sub_f16_e32 v27, v30, v36
	v_sub_f16_e32 v36, v38, v39
	;; [unrolled: 1-line block ×6, first 2 shown]
	v_add_f16_e32 v34, v34, v35
	v_sub_f16_e32 v57, v44, v45
	v_sub_f16_e32 v58, v45, v46
	;; [unrolled: 1-line block ×6, first 2 shown]
	v_add_f16_e32 v20, v20, v26
	v_sub_f16_e32 v35, v35, v33
	v_sub_f16_e32 v44, v46, v44
	;; [unrolled: 1-line block ×4, first 2 shown]
	v_mul_f16_e32 v28, 0x3846, v28
	v_mul_f16_e32 v47, 0x2b26, v50
	v_add_f16_e32 v39, v39, v51
	v_mul_f16_e32 v49, 0x3a52, v52
	v_mul_f16_e32 v50, 0x2b26, v53
	v_add_f16_e32 v42, v42, v54
	v_mul_f16_e32 v51, 0x3846, v56
	v_add_f16_e32 v5, v5, v31
	v_mul_f16_e32 v31, 0xbb00, v37
	v_mul_f16_e32 v53, 0xbb00, v32
	v_add_f16_e32 v45, v45, v59
	v_add_f16_e32 v48, v48, v62
	;; [unrolled: 1-line block ×3, first 2 shown]
	v_mul_f16_e32 v30, 0x3a52, v36
	v_mul_f16_e32 v43, 0x3846, v43
	v_add_f16_e32 v33, v33, v34
	v_mul_f16_e32 v34, 0x3a52, v57
	v_mul_f16_e32 v54, 0x2b26, v58
	;; [unrolled: 1-line block ×5, first 2 shown]
	v_add_f16_e32 v20, v25, v20
	v_mul_f16_e32 v25, 0xbb00, v35
	v_mul_f16_e32 v61, 0xbb00, v26
	v_fmamk_f16 v62, v27, 0xb574, v28
	v_add_f16_e32 v19, v19, v39
	v_add_f16_e32 v17, v17, v42
	v_fmamk_f16 v64, v55, 0xb574, v51
	v_fma_f16 v27, v27, 0x3574, -v31
	v_fma_f16 v31, v40, 0xb9e0, -v49
	;; [unrolled: 1-line block ×5, first 2 shown]
	v_add_f16_e32 v18, v18, v45
	v_add_f16_e32 v16, v16, v48
	v_fmamk_f16 v36, v36, 0x3a52, v47
	v_fmamk_f16 v52, v52, 0x3a52, v50
	v_fma_f16 v30, v38, 0xb9e0, -v30
	v_fma_f16 v38, v38, 0x39e0, -v47
	;; [unrolled: 1-line block ×3, first 2 shown]
	v_fmamk_f16 v40, v41, 0xb574, v43
	v_fmamk_f16 v47, v57, 0x3a52, v54
	;; [unrolled: 1-line block ×4, first 2 shown]
	v_fma_f16 v25, v41, 0x3574, -v25
	v_fma_f16 v34, v44, 0xb9e0, -v34
	;; [unrolled: 1-line block ×8, first 2 shown]
	v_fmac_f16_e32 v62, 0xb70e, v29
	v_fmamk_f16 v39, v39, 0xbcab, v19
	v_fmamk_f16 v42, v42, 0xbcab, v17
	v_fmac_f16_e32 v64, 0xb70e, v5
	v_fmac_f16_e32 v27, 0xb70e, v29
	;; [unrolled: 1-line block ×5, first 2 shown]
	v_fmamk_f16 v5, v45, 0xbcab, v18
	v_fmamk_f16 v29, v48, 0xbcab, v16
	v_fmac_f16_e32 v40, 0xb70e, v33
	v_fmac_f16_e32 v51, 0xb70e, v20
	;; [unrolled: 1-line block ×6, first 2 shown]
	v_pack_b32_f16 v16, v16, v18
	v_add_f16_e32 v18, v36, v39
	v_add_f16_e32 v20, v30, v39
	;; [unrolled: 1-line block ×11, first 2 shown]
	v_pack_b32_f16 v17, v17, v19
	v_add_f16_e32 v19, v52, v42
	v_sub_f16_e32 v43, v31, v28
	v_add_f16_e32 v44, v32, v33
	v_add_f16_e32 v28, v28, v31
	v_sub_f16_e32 v31, v33, v32
	v_sub_f16_e32 v32, v37, v51
	;; [unrolled: 1-line block ×3, first 2 shown]
	v_add_f16_e32 v5, v35, v5
	v_add_f16_e32 v35, v51, v37
	v_sub_f16_e32 v37, v29, v26
	v_add_f16_e32 v26, v26, v29
	v_add_f16_e32 v33, v25, v34
	v_sub_f16_e32 v25, v34, v25
	v_sub_f16_e32 v34, v36, v40
	v_add_f16_e32 v41, v27, v20
	v_sub_f16_e32 v42, v30, v49
	v_sub_f16_e32 v20, v20, v27
	v_add_f16_e32 v27, v49, v30
	v_add_f16_e32 v30, v40, v36
	;; [unrolled: 1-line block ×3, first 2 shown]
	global_store_b32 v[2:3], v16, off
	v_add_f16_e32 v16, v62, v18
	v_sub_f16_e32 v39, v19, v64
	v_sub_f16_e32 v18, v18, v62
	v_add_f16_e32 v19, v64, v19
	v_sub_f16_e32 v29, v38, v53
	v_pack_b32_f16 v26, v26, v45
	v_pack_b32_f16 v34, v35, v34
	;; [unrolled: 1-line block ×12, first 2 shown]
	s_clause 0xc
	global_store_b32 v[2:3], v26, off offset:2880
	global_store_b32 v[2:3], v34, off offset:720
	;; [unrolled: 1-line block ×13, first 2 shown]
	s_and_b32 exec_lo, exec_lo, s0
	s_cbranch_execz .LBB0_34
; %bb.33:
	v_subrev_nc_u32_e32 v0, 54, v0
	s_delay_alu instid0(VALU_DEP_1) | instskip(NEXT) | instid1(VALU_DEP_1)
	v_cndmask_b32_e64 v0, v0, v4, s0
	v_mul_i32_i24_e32 v0, 6, v0
	s_delay_alu instid0(VALU_DEP_1) | instskip(NEXT) | instid1(VALU_DEP_1)
	v_lshlrev_b64_e32 v[0:1], 2, v[0:1]
	v_add_co_u32 v0, vcc_lo, s4, v0
	s_wait_alu 0xfffd
	s_delay_alu instid0(VALU_DEP_2)
	v_add_co_ci_u32_e32 v1, vcc_lo, s5, v1, vcc_lo
	s_clause 0x1
	global_load_b128 v[16:19], v[0:1], off offset:712
	global_load_b64 v[0:1], v[0:1], off offset:728
	s_wait_loadcnt 0x1
	v_lshrrev_b32_e32 v4, 16, v16
	v_lshrrev_b32_e32 v5, 16, v17
	s_wait_loadcnt 0x0
	v_lshrrev_b32_e32 v26, 16, v0
	v_lshrrev_b32_e32 v27, 16, v1
	;; [unrolled: 1-line block ×4, first 2 shown]
	v_mul_f16_e32 v28, v24, v4
	v_mul_f16_e32 v4, v14, v4
	v_mul_f16_e32 v29, v22, v5
	v_mul_f16_e32 v5, v12, v5
	v_mul_f16_e32 v32, v21, v26
	v_mul_f16_e32 v26, v11, v26
	v_mul_f16_e32 v33, v8, v27
	v_mul_f16_e32 v27, v7, v27
	v_mul_f16_e32 v30, v23, v20
	v_mul_f16_e32 v20, v13, v20
	v_mul_f16_e32 v31, v6, v25
	v_mul_f16_e32 v25, v9, v25
	v_fmac_f16_e32 v28, v14, v16
	v_fma_f16 v4, v24, v16, -v4
	v_fmac_f16_e32 v29, v12, v17
	v_fma_f16 v5, v22, v17, -v5
	;; [unrolled: 2-line block ×6, first 2 shown]
	v_add_f16_e32 v7, v28, v33
	v_add_f16_e32 v8, v4, v1
	v_sub_f16_e32 v1, v4, v1
	v_add_f16_e32 v4, v29, v32
	v_add_f16_e32 v11, v5, v0
	v_sub_f16_e32 v9, v28, v33
	v_sub_f16_e32 v13, v29, v32
	;; [unrolled: 1-line block ×3, first 2 shown]
	v_add_f16_e32 v5, v30, v31
	v_add_f16_e32 v14, v12, v6
	v_sub_f16_e32 v16, v31, v30
	v_sub_f16_e32 v6, v6, v12
	v_add_f16_e32 v12, v4, v7
	v_add_f16_e32 v17, v11, v8
	v_sub_f16_e32 v18, v4, v7
	v_sub_f16_e32 v19, v11, v8
	;; [unrolled: 1-line block ×6, first 2 shown]
	v_add_f16_e32 v20, v16, v13
	v_add_f16_e32 v21, v6, v0
	v_sub_f16_e32 v22, v16, v13
	v_sub_f16_e32 v23, v6, v0
	v_sub_f16_e32 v13, v13, v9
	v_add_f16_e32 v5, v5, v12
	v_add_f16_e32 v12, v14, v17
	v_sub_f16_e32 v0, v0, v1
	v_sub_f16_e32 v16, v9, v16
	;; [unrolled: 1-line block ×3, first 2 shown]
	v_add_f16_e32 v9, v20, v9
	v_add_f16_e32 v1, v21, v1
	v_mul_f16_e32 v7, 0x3a52, v7
	v_mul_f16_e32 v8, 0x3a52, v8
	;; [unrolled: 1-line block ×7, first 2 shown]
	v_add_f16_e32 v10, v10, v5
	v_add_f16_e32 v15, v15, v12
	v_mul_f16_e32 v23, 0xbb00, v0
	v_fmamk_f16 v4, v4, 0x2b26, v7
	v_fmamk_f16 v11, v11, 0x2b26, v8
	v_fma_f16 v14, v18, 0x39e0, -v14
	v_fma_f16 v17, v19, 0x39e0, -v17
	;; [unrolled: 1-line block ×4, first 2 shown]
	v_fmamk_f16 v18, v16, 0xb574, v20
	v_fmamk_f16 v19, v6, 0xb574, v21
	v_fma_f16 v13, v13, 0xbb00, -v20
	v_fma_f16 v16, v16, 0x3574, -v22
	v_fmamk_f16 v5, v5, 0xbcab, v10
	v_fmamk_f16 v12, v12, 0xbcab, v15
	v_fma_f16 v0, v0, 0xbb00, -v21
	v_fma_f16 v6, v6, 0x3574, -v23
	v_fmac_f16_e32 v18, 0xb70e, v9
	v_fmac_f16_e32 v19, 0xb70e, v1
	;; [unrolled: 1-line block ×4, first 2 shown]
	v_add_f16_e32 v4, v4, v5
	v_add_f16_e32 v9, v11, v12
	v_fmac_f16_e32 v0, 0xb70e, v1
	v_fmac_f16_e32 v6, 0xb70e, v1
	v_pack_b32_f16 v1, v10, v15
	v_add_f16_e32 v10, v14, v5
	v_add_f16_e32 v5, v7, v5
	;; [unrolled: 1-line block ×5, first 2 shown]
	v_sub_f16_e32 v12, v9, v18
	v_add_f16_e32 v14, v6, v5
	v_sub_f16_e32 v15, v7, v16
	v_sub_f16_e32 v17, v10, v0
	v_add_f16_e32 v20, v13, v8
	v_add_f16_e32 v0, v0, v10
	v_sub_f16_e32 v8, v8, v13
	v_sub_f16_e32 v5, v5, v6
	v_add_f16_e32 v6, v16, v7
	v_sub_f16_e32 v4, v4, v19
	v_add_f16_e32 v7, v18, v9
	v_pack_b32_f16 v9, v11, v12
	v_pack_b32_f16 v10, v14, v15
	;; [unrolled: 1-line block ×6, first 2 shown]
	s_clause 0x6
	global_store_b32 v[2:3], v1, off offset:504
	global_store_b32 v[2:3], v9, off offset:1224
	;; [unrolled: 1-line block ×7, first 2 shown]
.LBB0_34:
	s_nop 0
	s_sendmsg sendmsg(MSG_DEALLOC_VGPRS)
	s_endpgm
	.section	.rodata,"a",@progbits
	.p2align	6, 0x0
	.amdhsa_kernel fft_rtc_back_len1260_factors_2_2_3_3_5_7_wgs_63_tpt_63_halfLds_half_ip_CI_unitstride_sbrr_dirReg
		.amdhsa_group_segment_fixed_size 0
		.amdhsa_private_segment_fixed_size 0
		.amdhsa_kernarg_size 88
		.amdhsa_user_sgpr_count 2
		.amdhsa_user_sgpr_dispatch_ptr 0
		.amdhsa_user_sgpr_queue_ptr 0
		.amdhsa_user_sgpr_kernarg_segment_ptr 1
		.amdhsa_user_sgpr_dispatch_id 0
		.amdhsa_user_sgpr_private_segment_size 0
		.amdhsa_wavefront_size32 1
		.amdhsa_uses_dynamic_stack 0
		.amdhsa_enable_private_segment 0
		.amdhsa_system_sgpr_workgroup_id_x 1
		.amdhsa_system_sgpr_workgroup_id_y 0
		.amdhsa_system_sgpr_workgroup_id_z 0
		.amdhsa_system_sgpr_workgroup_info 0
		.amdhsa_system_vgpr_workitem_id 0
		.amdhsa_next_free_vgpr 105
		.amdhsa_next_free_sgpr 32
		.amdhsa_reserve_vcc 1
		.amdhsa_float_round_mode_32 0
		.amdhsa_float_round_mode_16_64 0
		.amdhsa_float_denorm_mode_32 3
		.amdhsa_float_denorm_mode_16_64 3
		.amdhsa_fp16_overflow 0
		.amdhsa_workgroup_processor_mode 1
		.amdhsa_memory_ordered 1
		.amdhsa_forward_progress 0
		.amdhsa_round_robin_scheduling 0
		.amdhsa_exception_fp_ieee_invalid_op 0
		.amdhsa_exception_fp_denorm_src 0
		.amdhsa_exception_fp_ieee_div_zero 0
		.amdhsa_exception_fp_ieee_overflow 0
		.amdhsa_exception_fp_ieee_underflow 0
		.amdhsa_exception_fp_ieee_inexact 0
		.amdhsa_exception_int_div_zero 0
	.end_amdhsa_kernel
	.text
.Lfunc_end0:
	.size	fft_rtc_back_len1260_factors_2_2_3_3_5_7_wgs_63_tpt_63_halfLds_half_ip_CI_unitstride_sbrr_dirReg, .Lfunc_end0-fft_rtc_back_len1260_factors_2_2_3_3_5_7_wgs_63_tpt_63_halfLds_half_ip_CI_unitstride_sbrr_dirReg
                                        ; -- End function
	.section	.AMDGPU.csdata,"",@progbits
; Kernel info:
; codeLenInByte = 14340
; NumSgprs: 34
; NumVgprs: 105
; ScratchSize: 0
; MemoryBound: 0
; FloatMode: 240
; IeeeMode: 1
; LDSByteSize: 0 bytes/workgroup (compile time only)
; SGPRBlocks: 4
; VGPRBlocks: 13
; NumSGPRsForWavesPerEU: 34
; NumVGPRsForWavesPerEU: 105
; Occupancy: 12
; WaveLimiterHint : 1
; COMPUTE_PGM_RSRC2:SCRATCH_EN: 0
; COMPUTE_PGM_RSRC2:USER_SGPR: 2
; COMPUTE_PGM_RSRC2:TRAP_HANDLER: 0
; COMPUTE_PGM_RSRC2:TGID_X_EN: 1
; COMPUTE_PGM_RSRC2:TGID_Y_EN: 0
; COMPUTE_PGM_RSRC2:TGID_Z_EN: 0
; COMPUTE_PGM_RSRC2:TIDIG_COMP_CNT: 0
	.text
	.p2alignl 7, 3214868480
	.fill 96, 4, 3214868480
	.type	__hip_cuid_2c58bf957bf33a3d,@object ; @__hip_cuid_2c58bf957bf33a3d
	.section	.bss,"aw",@nobits
	.globl	__hip_cuid_2c58bf957bf33a3d
__hip_cuid_2c58bf957bf33a3d:
	.byte	0                               ; 0x0
	.size	__hip_cuid_2c58bf957bf33a3d, 1

	.ident	"AMD clang version 19.0.0git (https://github.com/RadeonOpenCompute/llvm-project roc-6.4.0 25133 c7fe45cf4b819c5991fe208aaa96edf142730f1d)"
	.section	".note.GNU-stack","",@progbits
	.addrsig
	.addrsig_sym __hip_cuid_2c58bf957bf33a3d
	.amdgpu_metadata
---
amdhsa.kernels:
  - .args:
      - .actual_access:  read_only
        .address_space:  global
        .offset:         0
        .size:           8
        .value_kind:     global_buffer
      - .offset:         8
        .size:           8
        .value_kind:     by_value
      - .actual_access:  read_only
        .address_space:  global
        .offset:         16
        .size:           8
        .value_kind:     global_buffer
      - .actual_access:  read_only
        .address_space:  global
        .offset:         24
        .size:           8
        .value_kind:     global_buffer
      - .offset:         32
        .size:           8
        .value_kind:     by_value
      - .actual_access:  read_only
        .address_space:  global
        .offset:         40
        .size:           8
        .value_kind:     global_buffer
      - .actual_access:  read_only
        .address_space:  global
        .offset:         48
        .size:           8
        .value_kind:     global_buffer
      - .offset:         56
        .size:           4
        .value_kind:     by_value
      - .actual_access:  read_only
        .address_space:  global
        .offset:         64
        .size:           8
        .value_kind:     global_buffer
      - .actual_access:  read_only
        .address_space:  global
        .offset:         72
        .size:           8
        .value_kind:     global_buffer
      - .address_space:  global
        .offset:         80
        .size:           8
        .value_kind:     global_buffer
    .group_segment_fixed_size: 0
    .kernarg_segment_align: 8
    .kernarg_segment_size: 88
    .language:       OpenCL C
    .language_version:
      - 2
      - 0
    .max_flat_workgroup_size: 63
    .name:           fft_rtc_back_len1260_factors_2_2_3_3_5_7_wgs_63_tpt_63_halfLds_half_ip_CI_unitstride_sbrr_dirReg
    .private_segment_fixed_size: 0
    .sgpr_count:     34
    .sgpr_spill_count: 0
    .symbol:         fft_rtc_back_len1260_factors_2_2_3_3_5_7_wgs_63_tpt_63_halfLds_half_ip_CI_unitstride_sbrr_dirReg.kd
    .uniform_work_group_size: 1
    .uses_dynamic_stack: false
    .vgpr_count:     105
    .vgpr_spill_count: 0
    .wavefront_size: 32
    .workgroup_processor_mode: 1
amdhsa.target:   amdgcn-amd-amdhsa--gfx1201
amdhsa.version:
  - 1
  - 2
...

	.end_amdgpu_metadata
